;; amdgpu-corpus repo=ROCm/rocSPARSE kind=compiled arch=gfx1030 opt=O3
	.amdgcn_target "amdgcn-amd-amdhsa--gfx1030"
	.amdhsa_code_object_version 6
	.section	.text._ZN9rocsparseL17doti_kernel_part1ILj256ELj2EifffEEvT1_PKT2_PKS1_PKT3_PT4_21rocsparse_index_base_,"axG",@progbits,_ZN9rocsparseL17doti_kernel_part1ILj256ELj2EifffEEvT1_PKT2_PKS1_PKT3_PT4_21rocsparse_index_base_,comdat
	.globl	_ZN9rocsparseL17doti_kernel_part1ILj256ELj2EifffEEvT1_PKT2_PKS1_PKT3_PT4_21rocsparse_index_base_ ; -- Begin function _ZN9rocsparseL17doti_kernel_part1ILj256ELj2EifffEEvT1_PKT2_PKS1_PKT3_PT4_21rocsparse_index_base_
	.p2align	8
	.type	_ZN9rocsparseL17doti_kernel_part1ILj256ELj2EifffEEvT1_PKT2_PKS1_PKT3_PT4_21rocsparse_index_base_,@function
_ZN9rocsparseL17doti_kernel_part1ILj256ELj2EifffEEvT1_PKT2_PKS1_PKT3_PT4_21rocsparse_index_base_: ; @_ZN9rocsparseL17doti_kernel_part1ILj256ELj2EifffEEvT1_PKT2_PKS1_PKT3_PT4_21rocsparse_index_base_
; %bb.0:
	s_clause 0x3
	s_load_dword s2, s[4:5], 0x30
	s_load_dword s0, s[4:5], 0x0
	;; [unrolled: 1-line block ×3, first 2 shown]
	s_load_dwordx8 s[8:15], s[4:5], 0x8
	v_mov_b32_e32 v3, 0
	s_waitcnt lgkmcnt(0)
	s_lshl_b32 s3, s2, 9
	s_cmp_ge_i32 s3, s0
	s_mov_b32 s5, s3
	s_cbranch_scc1 .LBB0_3
; %bb.1:
	v_lshl_or_b32 v4, s6, 9, v0
	v_mov_b32_e32 v2, 0
	v_mov_b32_e32 v3, 0
	s_mov_b32 s4, 0
.LBB0_2:                                ; =>This Inner Loop Header: Depth=1
	v_add_nc_u32_e32 v1, s4, v4
	s_add_i32 s4, s4, s3
	s_add_i32 s5, s3, s4
	s_cmp_lt_i32 s5, s0
	v_lshlrev_b64 v[5:6], 2, v[1:2]
	v_add_nc_u32_e32 v1, 0x100, v1
	v_lshlrev_b64 v[7:8], 2, v[1:2]
	v_add_co_u32 v9, vcc_lo, s10, v5
	v_add_co_ci_u32_e64 v10, null, s11, v6, vcc_lo
	v_add_co_u32 v11, vcc_lo, s10, v7
	v_add_co_ci_u32_e64 v12, null, s11, v8, vcc_lo
	s_clause 0x1
	global_load_dword v1, v[9:10], off
	global_load_dword v9, v[11:12], off
	v_add_co_u32 v5, vcc_lo, s8, v5
	v_add_co_ci_u32_e64 v6, null, s9, v6, vcc_lo
	global_load_dword v11, v[5:6], off
	v_add_co_u32 v5, vcc_lo, s8, v7
	v_add_co_ci_u32_e64 v6, null, s9, v8, vcc_lo
	s_waitcnt vmcnt(2)
	v_subrev_nc_u32_e32 v7, s1, v1
	s_waitcnt vmcnt(1)
	v_subrev_nc_u32_e32 v9, s1, v9
	v_ashrrev_i32_e32 v8, 31, v7
	v_ashrrev_i32_e32 v10, 31, v9
	v_lshlrev_b64 v[7:8], 2, v[7:8]
	v_lshlrev_b64 v[9:10], 2, v[9:10]
	v_add_co_u32 v7, vcc_lo, s12, v7
	v_add_co_ci_u32_e64 v8, null, s13, v8, vcc_lo
	global_load_dword v1, v[7:8], off
	v_add_co_u32 v7, vcc_lo, s12, v9
	v_add_co_ci_u32_e64 v8, null, s13, v10, vcc_lo
	global_load_dword v5, v[5:6], off
	global_load_dword v6, v[7:8], off
	s_waitcnt vmcnt(2)
	v_fmac_f32_e32 v3, v1, v11
	s_waitcnt vmcnt(0)
	v_fmac_f32_e32 v3, v6, v5
	s_cbranch_scc1 .LBB0_2
.LBB0_3:
	v_lshl_or_b32 v1, s6, 8, v0
	v_subrev_nc_u32_e32 v1, s3, v1
	s_mov_b32 s3, exec_lo
	v_add_nc_u32_e32 v1, s5, v1
	v_cmpx_gt_i32_e64 s0, v1
	s_cbranch_execz .LBB0_7
; %bb.4:
	s_lshl_b32 s4, s2, 8
	s_mov_b32 s2, 0
	.p2align	6
.LBB0_5:                                ; =>This Inner Loop Header: Depth=1
	v_ashrrev_i32_e32 v2, 31, v1
	v_lshlrev_b64 v[4:5], 2, v[1:2]
	v_add_nc_u32_e32 v1, s4, v1
	v_add_co_u32 v6, vcc_lo, s10, v4
	v_add_co_ci_u32_e64 v7, null, s11, v5, vcc_lo
	global_load_dword v2, v[6:7], off
	s_waitcnt vmcnt(0)
	v_subrev_nc_u32_e32 v6, s1, v2
	v_ashrrev_i32_e32 v7, 31, v6
	v_lshlrev_b64 v[6:7], 2, v[6:7]
	v_add_co_u32 v6, vcc_lo, s12, v6
	v_add_co_ci_u32_e64 v7, null, s13, v7, vcc_lo
	v_add_co_u32 v4, vcc_lo, s8, v4
	v_add_co_ci_u32_e64 v5, null, s9, v5, vcc_lo
	global_load_dword v2, v[6:7], off
	global_load_dword v4, v[4:5], off
	v_cmp_le_i32_e32 vcc_lo, s0, v1
	s_or_b32 s2, vcc_lo, s2
	s_waitcnt vmcnt(0)
	v_fmac_f32_e32 v3, v2, v4
	s_andn2_b32 exec_lo, exec_lo, s2
	s_cbranch_execnz .LBB0_5
; %bb.6:
	s_or_b32 exec_lo, exec_lo, s2
.LBB0_7:
	s_or_b32 exec_lo, exec_lo, s3
	v_lshlrev_b32_e32 v1, 2, v0
	s_mov_b32 s0, exec_lo
	ds_write_b32 v1, v3
	s_waitcnt lgkmcnt(0)
	s_barrier
	buffer_gl0_inv
	v_cmpx_gt_u32_e32 0x80, v0
	s_cbranch_execz .LBB0_9
; %bb.8:
	ds_read2st64_b32 v[2:3], v1 offset1:2
	s_waitcnt lgkmcnt(0)
	v_add_f32_e32 v2, v2, v3
	ds_write_b32 v1, v2
.LBB0_9:
	s_or_b32 exec_lo, exec_lo, s0
	s_mov_b32 s0, exec_lo
	s_waitcnt lgkmcnt(0)
	s_barrier
	buffer_gl0_inv
	v_cmpx_gt_u32_e32 64, v0
	s_cbranch_execz .LBB0_11
; %bb.10:
	ds_read2st64_b32 v[2:3], v1 offset1:1
	s_waitcnt lgkmcnt(0)
	v_add_f32_e32 v2, v2, v3
	ds_write_b32 v1, v2
.LBB0_11:
	s_or_b32 exec_lo, exec_lo, s0
	s_mov_b32 s0, exec_lo
	s_waitcnt lgkmcnt(0)
	s_barrier
	buffer_gl0_inv
	v_cmpx_gt_u32_e32 32, v0
	s_cbranch_execz .LBB0_13
; %bb.12:
	ds_read2_b32 v[2:3], v1 offset1:32
	s_waitcnt lgkmcnt(0)
	v_add_f32_e32 v2, v2, v3
	ds_write_b32 v1, v2
.LBB0_13:
	s_or_b32 exec_lo, exec_lo, s0
	s_mov_b32 s0, exec_lo
	s_waitcnt lgkmcnt(0)
	s_barrier
	buffer_gl0_inv
	v_cmpx_gt_u32_e32 16, v0
	s_cbranch_execz .LBB0_15
; %bb.14:
	ds_read2_b32 v[2:3], v1 offset1:16
	s_waitcnt lgkmcnt(0)
	v_add_f32_e32 v2, v2, v3
	ds_write_b32 v1, v2
.LBB0_15:
	s_or_b32 exec_lo, exec_lo, s0
	s_mov_b32 s0, exec_lo
	s_waitcnt lgkmcnt(0)
	s_barrier
	buffer_gl0_inv
	v_cmpx_gt_u32_e32 8, v0
	s_cbranch_execz .LBB0_17
; %bb.16:
	ds_read2_b32 v[2:3], v1 offset1:8
	s_waitcnt lgkmcnt(0)
	v_add_f32_e32 v2, v2, v3
	ds_write_b32 v1, v2
.LBB0_17:
	s_or_b32 exec_lo, exec_lo, s0
	s_mov_b32 s0, exec_lo
	s_waitcnt lgkmcnt(0)
	s_barrier
	buffer_gl0_inv
	v_cmpx_gt_u32_e32 4, v0
	s_cbranch_execz .LBB0_19
; %bb.18:
	ds_read2_b32 v[2:3], v1 offset1:4
	s_waitcnt lgkmcnt(0)
	v_add_f32_e32 v2, v2, v3
	ds_write_b32 v1, v2
.LBB0_19:
	s_or_b32 exec_lo, exec_lo, s0
	s_mov_b32 s0, exec_lo
	s_waitcnt lgkmcnt(0)
	s_barrier
	buffer_gl0_inv
	v_cmpx_gt_u32_e32 2, v0
	s_cbranch_execz .LBB0_21
; %bb.20:
	ds_read2_b32 v[2:3], v1 offset1:2
	s_waitcnt lgkmcnt(0)
	v_add_f32_e32 v2, v2, v3
	ds_write_b32 v1, v2
.LBB0_21:
	s_or_b32 exec_lo, exec_lo, s0
	v_cmp_eq_u32_e32 vcc_lo, 0, v0
	s_waitcnt lgkmcnt(0)
	s_barrier
	buffer_gl0_inv
	s_and_saveexec_b32 s0, vcc_lo
	s_cbranch_execz .LBB0_23
; %bb.22:
	v_mov_b32_e32 v2, 0
	ds_read_b64 v[0:1], v2
	s_waitcnt lgkmcnt(0)
	v_add_f32_e32 v0, v0, v1
	ds_write_b32 v2, v0
.LBB0_23:
	s_or_b32 exec_lo, exec_lo, s0
	s_waitcnt lgkmcnt(0)
	s_barrier
	buffer_gl0_inv
	s_and_saveexec_b32 s0, vcc_lo
	s_cbranch_execz .LBB0_25
; %bb.24:
	v_mov_b32_e32 v0, 0
	s_mov_b32 s7, 0
	s_lshl_b64 s[0:1], s[6:7], 2
	s_add_u32 s0, s14, s0
	ds_read_b32 v1, v0
	s_addc_u32 s1, s15, s1
	s_waitcnt lgkmcnt(0)
	global_store_dword v0, v1, s[0:1]
.LBB0_25:
	s_endpgm
	.section	.rodata,"a",@progbits
	.p2align	6, 0x0
	.amdhsa_kernel _ZN9rocsparseL17doti_kernel_part1ILj256ELj2EifffEEvT1_PKT2_PKS1_PKT3_PT4_21rocsparse_index_base_
		.amdhsa_group_segment_fixed_size 1024
		.amdhsa_private_segment_fixed_size 0
		.amdhsa_kernarg_size 304
		.amdhsa_user_sgpr_count 6
		.amdhsa_user_sgpr_private_segment_buffer 1
		.amdhsa_user_sgpr_dispatch_ptr 0
		.amdhsa_user_sgpr_queue_ptr 0
		.amdhsa_user_sgpr_kernarg_segment_ptr 1
		.amdhsa_user_sgpr_dispatch_id 0
		.amdhsa_user_sgpr_flat_scratch_init 0
		.amdhsa_user_sgpr_private_segment_size 0
		.amdhsa_wavefront_size32 1
		.amdhsa_uses_dynamic_stack 0
		.amdhsa_system_sgpr_private_segment_wavefront_offset 0
		.amdhsa_system_sgpr_workgroup_id_x 1
		.amdhsa_system_sgpr_workgroup_id_y 0
		.amdhsa_system_sgpr_workgroup_id_z 0
		.amdhsa_system_sgpr_workgroup_info 0
		.amdhsa_system_vgpr_workitem_id 0
		.amdhsa_next_free_vgpr 13
		.amdhsa_next_free_sgpr 16
		.amdhsa_reserve_vcc 1
		.amdhsa_reserve_flat_scratch 0
		.amdhsa_float_round_mode_32 0
		.amdhsa_float_round_mode_16_64 0
		.amdhsa_float_denorm_mode_32 3
		.amdhsa_float_denorm_mode_16_64 3
		.amdhsa_dx10_clamp 1
		.amdhsa_ieee_mode 1
		.amdhsa_fp16_overflow 0
		.amdhsa_workgroup_processor_mode 1
		.amdhsa_memory_ordered 1
		.amdhsa_forward_progress 1
		.amdhsa_shared_vgpr_count 0
		.amdhsa_exception_fp_ieee_invalid_op 0
		.amdhsa_exception_fp_denorm_src 0
		.amdhsa_exception_fp_ieee_div_zero 0
		.amdhsa_exception_fp_ieee_overflow 0
		.amdhsa_exception_fp_ieee_underflow 0
		.amdhsa_exception_fp_ieee_inexact 0
		.amdhsa_exception_int_div_zero 0
	.end_amdhsa_kernel
	.section	.text._ZN9rocsparseL17doti_kernel_part1ILj256ELj2EifffEEvT1_PKT2_PKS1_PKT3_PT4_21rocsparse_index_base_,"axG",@progbits,_ZN9rocsparseL17doti_kernel_part1ILj256ELj2EifffEEvT1_PKT2_PKS1_PKT3_PT4_21rocsparse_index_base_,comdat
.Lfunc_end0:
	.size	_ZN9rocsparseL17doti_kernel_part1ILj256ELj2EifffEEvT1_PKT2_PKS1_PKT3_PT4_21rocsparse_index_base_, .Lfunc_end0-_ZN9rocsparseL17doti_kernel_part1ILj256ELj2EifffEEvT1_PKT2_PKS1_PKT3_PT4_21rocsparse_index_base_
                                        ; -- End function
	.set _ZN9rocsparseL17doti_kernel_part1ILj256ELj2EifffEEvT1_PKT2_PKS1_PKT3_PT4_21rocsparse_index_base_.num_vgpr, 13
	.set _ZN9rocsparseL17doti_kernel_part1ILj256ELj2EifffEEvT1_PKT2_PKS1_PKT3_PT4_21rocsparse_index_base_.num_agpr, 0
	.set _ZN9rocsparseL17doti_kernel_part1ILj256ELj2EifffEEvT1_PKT2_PKS1_PKT3_PT4_21rocsparse_index_base_.numbered_sgpr, 16
	.set _ZN9rocsparseL17doti_kernel_part1ILj256ELj2EifffEEvT1_PKT2_PKS1_PKT3_PT4_21rocsparse_index_base_.num_named_barrier, 0
	.set _ZN9rocsparseL17doti_kernel_part1ILj256ELj2EifffEEvT1_PKT2_PKS1_PKT3_PT4_21rocsparse_index_base_.private_seg_size, 0
	.set _ZN9rocsparseL17doti_kernel_part1ILj256ELj2EifffEEvT1_PKT2_PKS1_PKT3_PT4_21rocsparse_index_base_.uses_vcc, 1
	.set _ZN9rocsparseL17doti_kernel_part1ILj256ELj2EifffEEvT1_PKT2_PKS1_PKT3_PT4_21rocsparse_index_base_.uses_flat_scratch, 0
	.set _ZN9rocsparseL17doti_kernel_part1ILj256ELj2EifffEEvT1_PKT2_PKS1_PKT3_PT4_21rocsparse_index_base_.has_dyn_sized_stack, 0
	.set _ZN9rocsparseL17doti_kernel_part1ILj256ELj2EifffEEvT1_PKT2_PKS1_PKT3_PT4_21rocsparse_index_base_.has_recursion, 0
	.set _ZN9rocsparseL17doti_kernel_part1ILj256ELj2EifffEEvT1_PKT2_PKS1_PKT3_PT4_21rocsparse_index_base_.has_indirect_call, 0
	.section	.AMDGPU.csdata,"",@progbits
; Kernel info:
; codeLenInByte = 1060
; TotalNumSgprs: 18
; NumVgprs: 13
; ScratchSize: 0
; MemoryBound: 0
; FloatMode: 240
; IeeeMode: 1
; LDSByteSize: 1024 bytes/workgroup (compile time only)
; SGPRBlocks: 0
; VGPRBlocks: 1
; NumSGPRsForWavesPerEU: 18
; NumVGPRsForWavesPerEU: 13
; Occupancy: 16
; WaveLimiterHint : 1
; COMPUTE_PGM_RSRC2:SCRATCH_EN: 0
; COMPUTE_PGM_RSRC2:USER_SGPR: 6
; COMPUTE_PGM_RSRC2:TRAP_HANDLER: 0
; COMPUTE_PGM_RSRC2:TGID_X_EN: 1
; COMPUTE_PGM_RSRC2:TGID_Y_EN: 0
; COMPUTE_PGM_RSRC2:TGID_Z_EN: 0
; COMPUTE_PGM_RSRC2:TIDIG_COMP_CNT: 0
	.section	.text._ZN9rocsparseL17doti_kernel_part2ILj256EfEEvPT0_S2_,"axG",@progbits,_ZN9rocsparseL17doti_kernel_part2ILj256EfEEvPT0_S2_,comdat
	.globl	_ZN9rocsparseL17doti_kernel_part2ILj256EfEEvPT0_S2_ ; -- Begin function _ZN9rocsparseL17doti_kernel_part2ILj256EfEEvPT0_S2_
	.p2align	8
	.type	_ZN9rocsparseL17doti_kernel_part2ILj256EfEEvPT0_S2_,@function
_ZN9rocsparseL17doti_kernel_part2ILj256EfEEvPT0_S2_: ; @_ZN9rocsparseL17doti_kernel_part2ILj256EfEEvPT0_S2_
; %bb.0:
	s_load_dwordx4 s[0:3], s[4:5], 0x0
	v_lshlrev_b32_e32 v1, 2, v0
	s_mov_b32 s4, exec_lo
	s_waitcnt lgkmcnt(0)
	global_load_dword v2, v1, s[0:1]
	s_waitcnt vmcnt(0)
	ds_write_b32 v1, v2
	s_waitcnt lgkmcnt(0)
	s_barrier
	buffer_gl0_inv
	v_cmpx_gt_u32_e32 0x80, v0
	s_cbranch_execz .LBB1_2
; %bb.1:
	ds_read2st64_b32 v[2:3], v1 offset1:2
	s_waitcnt lgkmcnt(0)
	v_add_f32_e32 v2, v2, v3
	ds_write_b32 v1, v2
.LBB1_2:
	s_or_b32 exec_lo, exec_lo, s4
	s_mov_b32 s4, exec_lo
	s_waitcnt lgkmcnt(0)
	s_barrier
	buffer_gl0_inv
	v_cmpx_gt_u32_e32 64, v0
	s_cbranch_execz .LBB1_4
; %bb.3:
	ds_read2st64_b32 v[2:3], v1 offset1:1
	s_waitcnt lgkmcnt(0)
	v_add_f32_e32 v2, v2, v3
	ds_write_b32 v1, v2
.LBB1_4:
	s_or_b32 exec_lo, exec_lo, s4
	s_mov_b32 s4, exec_lo
	s_waitcnt lgkmcnt(0)
	s_barrier
	buffer_gl0_inv
	v_cmpx_gt_u32_e32 32, v0
	s_cbranch_execz .LBB1_6
; %bb.5:
	ds_read2_b32 v[2:3], v1 offset1:32
	s_waitcnt lgkmcnt(0)
	v_add_f32_e32 v2, v2, v3
	ds_write_b32 v1, v2
.LBB1_6:
	s_or_b32 exec_lo, exec_lo, s4
	s_mov_b32 s4, exec_lo
	s_waitcnt lgkmcnt(0)
	s_barrier
	buffer_gl0_inv
	v_cmpx_gt_u32_e32 16, v0
	s_cbranch_execz .LBB1_8
; %bb.7:
	ds_read2_b32 v[2:3], v1 offset1:16
	s_waitcnt lgkmcnt(0)
	v_add_f32_e32 v2, v2, v3
	ds_write_b32 v1, v2
.LBB1_8:
	;; [unrolled: 13-line block ×5, first 2 shown]
	s_or_b32 exec_lo, exec_lo, s4
	v_cmp_eq_u32_e32 vcc_lo, 0, v0
	s_waitcnt lgkmcnt(0)
	s_barrier
	buffer_gl0_inv
	s_and_saveexec_b32 s4, vcc_lo
	s_cbranch_execz .LBB1_16
; %bb.15:
	v_mov_b32_e32 v2, 0
	ds_read_b64 v[0:1], v2
	s_waitcnt lgkmcnt(0)
	v_add_f32_e32 v0, v0, v1
	ds_write_b32 v2, v0
.LBB1_16:
	s_or_b32 exec_lo, exec_lo, s4
	s_waitcnt lgkmcnt(0)
	s_barrier
	buffer_gl0_inv
	s_and_saveexec_b32 s4, vcc_lo
	s_cbranch_execz .LBB1_18
; %bb.17:
	v_mov_b32_e32 v0, 0
	s_cmp_eq_u64 s[2:3], 0
	s_cselect_b32 s1, s1, s3
	s_cselect_b32 s0, s0, s2
	ds_read_b32 v1, v0
	s_waitcnt lgkmcnt(0)
	global_store_dword v0, v1, s[0:1]
.LBB1_18:
	s_endpgm
	.section	.rodata,"a",@progbits
	.p2align	6, 0x0
	.amdhsa_kernel _ZN9rocsparseL17doti_kernel_part2ILj256EfEEvPT0_S2_
		.amdhsa_group_segment_fixed_size 1024
		.amdhsa_private_segment_fixed_size 0
		.amdhsa_kernarg_size 16
		.amdhsa_user_sgpr_count 6
		.amdhsa_user_sgpr_private_segment_buffer 1
		.amdhsa_user_sgpr_dispatch_ptr 0
		.amdhsa_user_sgpr_queue_ptr 0
		.amdhsa_user_sgpr_kernarg_segment_ptr 1
		.amdhsa_user_sgpr_dispatch_id 0
		.amdhsa_user_sgpr_flat_scratch_init 0
		.amdhsa_user_sgpr_private_segment_size 0
		.amdhsa_wavefront_size32 1
		.amdhsa_uses_dynamic_stack 0
		.amdhsa_system_sgpr_private_segment_wavefront_offset 0
		.amdhsa_system_sgpr_workgroup_id_x 1
		.amdhsa_system_sgpr_workgroup_id_y 0
		.amdhsa_system_sgpr_workgroup_id_z 0
		.amdhsa_system_sgpr_workgroup_info 0
		.amdhsa_system_vgpr_workitem_id 0
		.amdhsa_next_free_vgpr 4
		.amdhsa_next_free_sgpr 6
		.amdhsa_reserve_vcc 1
		.amdhsa_reserve_flat_scratch 0
		.amdhsa_float_round_mode_32 0
		.amdhsa_float_round_mode_16_64 0
		.amdhsa_float_denorm_mode_32 3
		.amdhsa_float_denorm_mode_16_64 3
		.amdhsa_dx10_clamp 1
		.amdhsa_ieee_mode 1
		.amdhsa_fp16_overflow 0
		.amdhsa_workgroup_processor_mode 1
		.amdhsa_memory_ordered 1
		.amdhsa_forward_progress 1
		.amdhsa_shared_vgpr_count 0
		.amdhsa_exception_fp_ieee_invalid_op 0
		.amdhsa_exception_fp_denorm_src 0
		.amdhsa_exception_fp_ieee_div_zero 0
		.amdhsa_exception_fp_ieee_overflow 0
		.amdhsa_exception_fp_ieee_underflow 0
		.amdhsa_exception_fp_ieee_inexact 0
		.amdhsa_exception_int_div_zero 0
	.end_amdhsa_kernel
	.section	.text._ZN9rocsparseL17doti_kernel_part2ILj256EfEEvPT0_S2_,"axG",@progbits,_ZN9rocsparseL17doti_kernel_part2ILj256EfEEvPT0_S2_,comdat
.Lfunc_end1:
	.size	_ZN9rocsparseL17doti_kernel_part2ILj256EfEEvPT0_S2_, .Lfunc_end1-_ZN9rocsparseL17doti_kernel_part2ILj256EfEEvPT0_S2_
                                        ; -- End function
	.set _ZN9rocsparseL17doti_kernel_part2ILj256EfEEvPT0_S2_.num_vgpr, 4
	.set _ZN9rocsparseL17doti_kernel_part2ILj256EfEEvPT0_S2_.num_agpr, 0
	.set _ZN9rocsparseL17doti_kernel_part2ILj256EfEEvPT0_S2_.numbered_sgpr, 6
	.set _ZN9rocsparseL17doti_kernel_part2ILj256EfEEvPT0_S2_.num_named_barrier, 0
	.set _ZN9rocsparseL17doti_kernel_part2ILj256EfEEvPT0_S2_.private_seg_size, 0
	.set _ZN9rocsparseL17doti_kernel_part2ILj256EfEEvPT0_S2_.uses_vcc, 1
	.set _ZN9rocsparseL17doti_kernel_part2ILj256EfEEvPT0_S2_.uses_flat_scratch, 0
	.set _ZN9rocsparseL17doti_kernel_part2ILj256EfEEvPT0_S2_.has_dyn_sized_stack, 0
	.set _ZN9rocsparseL17doti_kernel_part2ILj256EfEEvPT0_S2_.has_recursion, 0
	.set _ZN9rocsparseL17doti_kernel_part2ILj256EfEEvPT0_S2_.has_indirect_call, 0
	.section	.AMDGPU.csdata,"",@progbits
; Kernel info:
; codeLenInByte = 556
; TotalNumSgprs: 8
; NumVgprs: 4
; ScratchSize: 0
; MemoryBound: 0
; FloatMode: 240
; IeeeMode: 1
; LDSByteSize: 1024 bytes/workgroup (compile time only)
; SGPRBlocks: 0
; VGPRBlocks: 0
; NumSGPRsForWavesPerEU: 8
; NumVGPRsForWavesPerEU: 4
; Occupancy: 16
; WaveLimiterHint : 0
; COMPUTE_PGM_RSRC2:SCRATCH_EN: 0
; COMPUTE_PGM_RSRC2:USER_SGPR: 6
; COMPUTE_PGM_RSRC2:TRAP_HANDLER: 0
; COMPUTE_PGM_RSRC2:TGID_X_EN: 1
; COMPUTE_PGM_RSRC2:TGID_Y_EN: 0
; COMPUTE_PGM_RSRC2:TGID_Z_EN: 0
; COMPUTE_PGM_RSRC2:TIDIG_COMP_CNT: 0
	.section	.text._ZN9rocsparseL17doti_kernel_part1ILj256ELj2ElfffEEvT1_PKT2_PKS1_PKT3_PT4_21rocsparse_index_base_,"axG",@progbits,_ZN9rocsparseL17doti_kernel_part1ILj256ELj2ElfffEEvT1_PKT2_PKS1_PKT3_PT4_21rocsparse_index_base_,comdat
	.globl	_ZN9rocsparseL17doti_kernel_part1ILj256ELj2ElfffEEvT1_PKT2_PKS1_PKT3_PT4_21rocsparse_index_base_ ; -- Begin function _ZN9rocsparseL17doti_kernel_part1ILj256ELj2ElfffEEvT1_PKT2_PKS1_PKT3_PT4_21rocsparse_index_base_
	.p2align	8
	.type	_ZN9rocsparseL17doti_kernel_part1ILj256ELj2ElfffEEvT1_PKT2_PKS1_PKT3_PT4_21rocsparse_index_base_,@function
_ZN9rocsparseL17doti_kernel_part1ILj256ELj2ElfffEEvT1_PKT2_PKS1_PKT3_PT4_21rocsparse_index_base_: ; @_ZN9rocsparseL17doti_kernel_part1ILj256ELj2ElfffEEvT1_PKT2_PKS1_PKT3_PT4_21rocsparse_index_base_
; %bb.0:
	s_clause 0x3
	s_load_dword s20, s[4:5], 0x30
	s_load_dwordx8 s[8:15], s[4:5], 0x0
	s_load_dwordx2 s[2:3], s[4:5], 0x20
	s_load_dword s7, s[4:5], 0x28
	s_mov_b32 s1, 0
	s_lshl_b32 s4, s6, 8
	v_mov_b32_e32 v2, 0
	v_or_b32_e32 v7, s4, v0
	s_waitcnt lgkmcnt(0)
	s_lshl_b32 s0, s20, 9
	v_cmp_le_i64_e64 s5, s[8:9], s[0:1]
	s_and_b32 vcc_lo, exec_lo, s5
	s_cbranch_vccnz .LBB2_3
; %bb.1:
	v_add_nc_u32_e32 v1, s4, v7
	v_mov_b32_e32 v2, 0
	s_lshl_b64 s[16:17], s[0:1], 2
	s_lshl_b64 s[18:19], s[0:1], 3
	s_mov_b64 s[4:5], s[0:1]
	v_lshlrev_b64 v[3:4], 2, v[1:2]
	v_lshlrev_b64 v[5:6], 3, v[1:2]
	v_add_co_u32 v1, vcc_lo, s10, v3
	v_add_co_ci_u32_e64 v4, null, s11, v4, vcc_lo
	v_add_co_u32 v5, vcc_lo, s12, v5
	v_add_co_ci_u32_e64 v6, null, s13, v6, vcc_lo
	;; [unrolled: 2-line block ×4, first 2 shown]
.LBB2_2:                                ; =>This Inner Loop Header: Depth=1
	s_clause 0x1
	global_load_dwordx2 v[8:9], v[5:6], off offset:-2048
	global_load_dwordx2 v[10:11], v[5:6], off
	global_load_dword v1, v[3:4], off offset:-1024
	s_add_u32 s4, s4, s0
	s_addc_u32 s5, s5, 0
	v_cmp_lt_i64_e64 s1, s[4:5], s[8:9]
	s_waitcnt vmcnt(2)
	v_sub_co_u32 v8, vcc_lo, v8, s7
	v_subrev_co_ci_u32_e64 v9, null, 0, v9, vcc_lo
	s_waitcnt vmcnt(1)
	v_sub_co_u32 v10, vcc_lo, v10, s7
	v_subrev_co_ci_u32_e64 v11, null, 0, v11, vcc_lo
	v_lshlrev_b64 v[8:9], 2, v[8:9]
	v_lshlrev_b64 v[10:11], 2, v[10:11]
	v_add_co_u32 v8, vcc_lo, s14, v8
	v_add_co_ci_u32_e64 v9, null, s15, v9, vcc_lo
	v_add_co_u32 v10, vcc_lo, s14, v10
	v_add_co_ci_u32_e64 v11, null, s15, v11, vcc_lo
	global_load_dword v8, v[8:9], off
	global_load_dword v9, v[3:4], off
	;; [unrolled: 1-line block ×3, first 2 shown]
	v_add_co_u32 v3, vcc_lo, v3, s16
	v_add_co_ci_u32_e64 v4, null, s17, v4, vcc_lo
	v_add_co_u32 v5, vcc_lo, v5, s18
	v_add_co_ci_u32_e64 v6, null, s19, v6, vcc_lo
	s_and_b32 vcc_lo, exec_lo, s1
	s_waitcnt vmcnt(2)
	v_fmac_f32_e32 v2, v8, v1
	s_waitcnt vmcnt(0)
	v_fmac_f32_e32 v2, v10, v9
	s_cbranch_vccnz .LBB2_2
	s_branch .LBB2_4
.LBB2_3:
	s_mov_b64 s[4:5], s[0:1]
.LBB2_4:
	v_sub_co_u32 v1, s0, v7, s0
	v_sub_co_ci_u32_e64 v4, null, 0, 0, s0
	s_mov_b32 s1, exec_lo
	v_add_co_u32 v3, vcc_lo, v1, s4
	v_add_co_ci_u32_e64 v4, null, s5, v4, vcc_lo
	v_cmpx_gt_i64_e64 s[8:9], v[3:4]
	s_cbranch_execz .LBB2_8
; %bb.5:
	v_lshlrev_b64 v[5:6], 2, v[3:4]
	v_lshlrev_b64 v[7:8], 3, v[3:4]
	s_mov_b32 s5, 0
	s_lshl_b32 s4, s20, 8
	v_add_co_u32 v5, vcc_lo, s10, v5
	v_add_co_ci_u32_e64 v6, null, s11, v6, vcc_lo
	v_add_co_u32 v7, vcc_lo, s12, v7
	v_add_co_ci_u32_e64 v8, null, s13, v8, vcc_lo
	s_lshl_b64 s[10:11], s[4:5], 2
	s_lshl_b64 s[12:13], s[4:5], 3
	s_inst_prefetch 0x1
	.p2align	6
.LBB2_6:                                ; =>This Inner Loop Header: Depth=1
	global_load_dwordx2 v[9:10], v[7:8], off
	v_add_co_u32 v7, s0, v7, s12
	v_add_co_ci_u32_e64 v8, null, s13, v8, s0
	s_waitcnt vmcnt(0)
	v_sub_co_u32 v9, vcc_lo, v9, s7
	v_subrev_co_ci_u32_e64 v10, null, 0, v10, vcc_lo
	v_lshlrev_b64 v[9:10], 2, v[9:10]
	v_add_co_u32 v9, vcc_lo, s14, v9
	v_add_co_ci_u32_e64 v10, null, s15, v10, vcc_lo
	v_add_co_u32 v3, vcc_lo, v3, s4
	global_load_dword v1, v[5:6], off
	global_load_dword v9, v[9:10], off
	v_add_co_ci_u32_e64 v4, null, 0, v4, vcc_lo
	v_add_co_u32 v5, vcc_lo, v5, s10
	v_add_co_ci_u32_e64 v6, null, s11, v6, vcc_lo
	v_cmp_le_i64_e32 vcc_lo, s[8:9], v[3:4]
	s_or_b32 s5, vcc_lo, s5
	s_waitcnt vmcnt(0)
	v_fmac_f32_e32 v2, v9, v1
	s_andn2_b32 exec_lo, exec_lo, s5
	s_cbranch_execnz .LBB2_6
; %bb.7:
	s_inst_prefetch 0x2
	s_or_b32 exec_lo, exec_lo, s5
.LBB2_8:
	s_or_b32 exec_lo, exec_lo, s1
	v_lshlrev_b32_e32 v1, 2, v0
	s_mov_b32 s0, exec_lo
	ds_write_b32 v1, v2
	s_waitcnt lgkmcnt(0)
	s_barrier
	buffer_gl0_inv
	v_cmpx_gt_u32_e32 0x80, v0
	s_cbranch_execz .LBB2_10
; %bb.9:
	ds_read2st64_b32 v[2:3], v1 offset1:2
	s_waitcnt lgkmcnt(0)
	v_add_f32_e32 v2, v2, v3
	ds_write_b32 v1, v2
.LBB2_10:
	s_or_b32 exec_lo, exec_lo, s0
	s_mov_b32 s0, exec_lo
	s_waitcnt lgkmcnt(0)
	s_barrier
	buffer_gl0_inv
	v_cmpx_gt_u32_e32 64, v0
	s_cbranch_execz .LBB2_12
; %bb.11:
	ds_read2st64_b32 v[2:3], v1 offset1:1
	s_waitcnt lgkmcnt(0)
	v_add_f32_e32 v2, v2, v3
	ds_write_b32 v1, v2
.LBB2_12:
	s_or_b32 exec_lo, exec_lo, s0
	s_mov_b32 s0, exec_lo
	s_waitcnt lgkmcnt(0)
	s_barrier
	buffer_gl0_inv
	v_cmpx_gt_u32_e32 32, v0
	s_cbranch_execz .LBB2_14
; %bb.13:
	ds_read2_b32 v[2:3], v1 offset1:32
	s_waitcnt lgkmcnt(0)
	v_add_f32_e32 v2, v2, v3
	ds_write_b32 v1, v2
.LBB2_14:
	s_or_b32 exec_lo, exec_lo, s0
	s_mov_b32 s0, exec_lo
	s_waitcnt lgkmcnt(0)
	s_barrier
	buffer_gl0_inv
	v_cmpx_gt_u32_e32 16, v0
	s_cbranch_execz .LBB2_16
; %bb.15:
	ds_read2_b32 v[2:3], v1 offset1:16
	s_waitcnt lgkmcnt(0)
	v_add_f32_e32 v2, v2, v3
	ds_write_b32 v1, v2
.LBB2_16:
	;; [unrolled: 13-line block ×5, first 2 shown]
	s_or_b32 exec_lo, exec_lo, s0
	v_cmp_eq_u32_e32 vcc_lo, 0, v0
	s_waitcnt lgkmcnt(0)
	s_barrier
	buffer_gl0_inv
	s_and_saveexec_b32 s0, vcc_lo
	s_cbranch_execz .LBB2_24
; %bb.23:
	v_mov_b32_e32 v2, 0
	ds_read_b64 v[0:1], v2
	s_waitcnt lgkmcnt(0)
	v_add_f32_e32 v0, v0, v1
	ds_write_b32 v2, v0
.LBB2_24:
	s_or_b32 exec_lo, exec_lo, s0
	s_waitcnt lgkmcnt(0)
	s_barrier
	buffer_gl0_inv
	s_and_saveexec_b32 s0, vcc_lo
	s_cbranch_execz .LBB2_26
; %bb.25:
	v_mov_b32_e32 v0, 0
	s_mov_b32 s7, 0
	s_lshl_b64 s[0:1], s[6:7], 2
	s_add_u32 s0, s2, s0
	ds_read_b32 v1, v0
	s_addc_u32 s1, s3, s1
	s_waitcnt lgkmcnt(0)
	global_store_dword v0, v1, s[0:1]
.LBB2_26:
	s_endpgm
	.section	.rodata,"a",@progbits
	.p2align	6, 0x0
	.amdhsa_kernel _ZN9rocsparseL17doti_kernel_part1ILj256ELj2ElfffEEvT1_PKT2_PKS1_PKT3_PT4_21rocsparse_index_base_
		.amdhsa_group_segment_fixed_size 1024
		.amdhsa_private_segment_fixed_size 0
		.amdhsa_kernarg_size 304
		.amdhsa_user_sgpr_count 6
		.amdhsa_user_sgpr_private_segment_buffer 1
		.amdhsa_user_sgpr_dispatch_ptr 0
		.amdhsa_user_sgpr_queue_ptr 0
		.amdhsa_user_sgpr_kernarg_segment_ptr 1
		.amdhsa_user_sgpr_dispatch_id 0
		.amdhsa_user_sgpr_flat_scratch_init 0
		.amdhsa_user_sgpr_private_segment_size 0
		.amdhsa_wavefront_size32 1
		.amdhsa_uses_dynamic_stack 0
		.amdhsa_system_sgpr_private_segment_wavefront_offset 0
		.amdhsa_system_sgpr_workgroup_id_x 1
		.amdhsa_system_sgpr_workgroup_id_y 0
		.amdhsa_system_sgpr_workgroup_id_z 0
		.amdhsa_system_sgpr_workgroup_info 0
		.amdhsa_system_vgpr_workitem_id 0
		.amdhsa_next_free_vgpr 12
		.amdhsa_next_free_sgpr 21
		.amdhsa_reserve_vcc 1
		.amdhsa_reserve_flat_scratch 0
		.amdhsa_float_round_mode_32 0
		.amdhsa_float_round_mode_16_64 0
		.amdhsa_float_denorm_mode_32 3
		.amdhsa_float_denorm_mode_16_64 3
		.amdhsa_dx10_clamp 1
		.amdhsa_ieee_mode 1
		.amdhsa_fp16_overflow 0
		.amdhsa_workgroup_processor_mode 1
		.amdhsa_memory_ordered 1
		.amdhsa_forward_progress 1
		.amdhsa_shared_vgpr_count 0
		.amdhsa_exception_fp_ieee_invalid_op 0
		.amdhsa_exception_fp_denorm_src 0
		.amdhsa_exception_fp_ieee_div_zero 0
		.amdhsa_exception_fp_ieee_overflow 0
		.amdhsa_exception_fp_ieee_underflow 0
		.amdhsa_exception_fp_ieee_inexact 0
		.amdhsa_exception_int_div_zero 0
	.end_amdhsa_kernel
	.section	.text._ZN9rocsparseL17doti_kernel_part1ILj256ELj2ElfffEEvT1_PKT2_PKS1_PKT3_PT4_21rocsparse_index_base_,"axG",@progbits,_ZN9rocsparseL17doti_kernel_part1ILj256ELj2ElfffEEvT1_PKT2_PKS1_PKT3_PT4_21rocsparse_index_base_,comdat
.Lfunc_end2:
	.size	_ZN9rocsparseL17doti_kernel_part1ILj256ELj2ElfffEEvT1_PKT2_PKS1_PKT3_PT4_21rocsparse_index_base_, .Lfunc_end2-_ZN9rocsparseL17doti_kernel_part1ILj256ELj2ElfffEEvT1_PKT2_PKS1_PKT3_PT4_21rocsparse_index_base_
                                        ; -- End function
	.set _ZN9rocsparseL17doti_kernel_part1ILj256ELj2ElfffEEvT1_PKT2_PKS1_PKT3_PT4_21rocsparse_index_base_.num_vgpr, 12
	.set _ZN9rocsparseL17doti_kernel_part1ILj256ELj2ElfffEEvT1_PKT2_PKS1_PKT3_PT4_21rocsparse_index_base_.num_agpr, 0
	.set _ZN9rocsparseL17doti_kernel_part1ILj256ELj2ElfffEEvT1_PKT2_PKS1_PKT3_PT4_21rocsparse_index_base_.numbered_sgpr, 21
	.set _ZN9rocsparseL17doti_kernel_part1ILj256ELj2ElfffEEvT1_PKT2_PKS1_PKT3_PT4_21rocsparse_index_base_.num_named_barrier, 0
	.set _ZN9rocsparseL17doti_kernel_part1ILj256ELj2ElfffEEvT1_PKT2_PKS1_PKT3_PT4_21rocsparse_index_base_.private_seg_size, 0
	.set _ZN9rocsparseL17doti_kernel_part1ILj256ELj2ElfffEEvT1_PKT2_PKS1_PKT3_PT4_21rocsparse_index_base_.uses_vcc, 1
	.set _ZN9rocsparseL17doti_kernel_part1ILj256ELj2ElfffEEvT1_PKT2_PKS1_PKT3_PT4_21rocsparse_index_base_.uses_flat_scratch, 0
	.set _ZN9rocsparseL17doti_kernel_part1ILj256ELj2ElfffEEvT1_PKT2_PKS1_PKT3_PT4_21rocsparse_index_base_.has_dyn_sized_stack, 0
	.set _ZN9rocsparseL17doti_kernel_part1ILj256ELj2ElfffEEvT1_PKT2_PKS1_PKT3_PT4_21rocsparse_index_base_.has_recursion, 0
	.set _ZN9rocsparseL17doti_kernel_part1ILj256ELj2ElfffEEvT1_PKT2_PKS1_PKT3_PT4_21rocsparse_index_base_.has_indirect_call, 0
	.section	.AMDGPU.csdata,"",@progbits
; Kernel info:
; codeLenInByte = 1264
; TotalNumSgprs: 23
; NumVgprs: 12
; ScratchSize: 0
; MemoryBound: 0
; FloatMode: 240
; IeeeMode: 1
; LDSByteSize: 1024 bytes/workgroup (compile time only)
; SGPRBlocks: 0
; VGPRBlocks: 1
; NumSGPRsForWavesPerEU: 23
; NumVGPRsForWavesPerEU: 12
; Occupancy: 16
; WaveLimiterHint : 1
; COMPUTE_PGM_RSRC2:SCRATCH_EN: 0
; COMPUTE_PGM_RSRC2:USER_SGPR: 6
; COMPUTE_PGM_RSRC2:TRAP_HANDLER: 0
; COMPUTE_PGM_RSRC2:TGID_X_EN: 1
; COMPUTE_PGM_RSRC2:TGID_Y_EN: 0
; COMPUTE_PGM_RSRC2:TGID_Z_EN: 0
; COMPUTE_PGM_RSRC2:TIDIG_COMP_CNT: 0
	.section	.text._ZN9rocsparseL17doti_kernel_part1ILj256ELj2EidddEEvT1_PKT2_PKS1_PKT3_PT4_21rocsparse_index_base_,"axG",@progbits,_ZN9rocsparseL17doti_kernel_part1ILj256ELj2EidddEEvT1_PKT2_PKS1_PKT3_PT4_21rocsparse_index_base_,comdat
	.globl	_ZN9rocsparseL17doti_kernel_part1ILj256ELj2EidddEEvT1_PKT2_PKS1_PKT3_PT4_21rocsparse_index_base_ ; -- Begin function _ZN9rocsparseL17doti_kernel_part1ILj256ELj2EidddEEvT1_PKT2_PKS1_PKT3_PT4_21rocsparse_index_base_
	.p2align	8
	.type	_ZN9rocsparseL17doti_kernel_part1ILj256ELj2EidddEEvT1_PKT2_PKS1_PKT3_PT4_21rocsparse_index_base_,@function
_ZN9rocsparseL17doti_kernel_part1ILj256ELj2EidddEEvT1_PKT2_PKS1_PKT3_PT4_21rocsparse_index_base_: ; @_ZN9rocsparseL17doti_kernel_part1ILj256ELj2EidddEEvT1_PKT2_PKS1_PKT3_PT4_21rocsparse_index_base_
; %bb.0:
	s_clause 0x3
	s_load_dword s2, s[4:5], 0x30
	s_load_dword s0, s[4:5], 0x0
	;; [unrolled: 1-line block ×3, first 2 shown]
	s_load_dwordx8 s[8:15], s[4:5], 0x8
	v_mov_b32_e32 v1, 0
	v_mov_b32_e32 v2, 0
	s_waitcnt lgkmcnt(0)
	s_lshl_b32 s3, s2, 9
	s_cmp_ge_i32 s3, s0
	s_mov_b32 s5, s3
	s_cbranch_scc1 .LBB3_3
; %bb.1:
	v_mov_b32_e32 v1, 0
	v_lshl_or_b32 v5, s6, 9, v0
	v_mov_b32_e32 v2, 0
	v_mov_b32_e32 v4, 0
	s_mov_b32 s4, 0
.LBB3_2:                                ; =>This Inner Loop Header: Depth=1
	v_add_nc_u32_e32 v3, s4, v5
	s_add_i32 s4, s4, s3
	s_add_i32 s5, s3, s4
	s_cmp_lt_i32 s5, s0
	v_lshlrev_b64 v[6:7], 2, v[3:4]
	v_add_co_u32 v6, vcc_lo, s10, v6
	v_add_co_ci_u32_e64 v7, null, s11, v7, vcc_lo
	global_load_dword v10, v[6:7], off
	v_lshlrev_b64 v[6:7], 3, v[3:4]
	v_add_nc_u32_e32 v3, 0x100, v3
	v_lshlrev_b64 v[8:9], 2, v[3:4]
	v_lshlrev_b64 v[12:13], 3, v[3:4]
	v_add_co_u32 v8, vcc_lo, s10, v8
	v_add_co_ci_u32_e64 v9, null, s11, v9, vcc_lo
	v_add_co_u32 v6, vcc_lo, s8, v6
	v_add_co_ci_u32_e64 v7, null, s9, v7, vcc_lo
	global_load_dword v11, v[8:9], off
	s_waitcnt vmcnt(1)
	v_subrev_nc_u32_e32 v8, s1, v10
	v_ashrrev_i32_e32 v9, 31, v8
	v_lshlrev_b64 v[8:9], 3, v[8:9]
	v_add_co_u32 v8, vcc_lo, s12, v8
	v_add_co_ci_u32_e64 v9, null, s13, v9, vcc_lo
	v_add_co_u32 v12, vcc_lo, s8, v12
	global_load_dwordx2 v[6:7], v[6:7], off
	global_load_dwordx2 v[8:9], v[8:9], off
	s_waitcnt vmcnt(2)
	v_subrev_nc_u32_e32 v10, s1, v11
	v_add_co_ci_u32_e64 v13, null, s9, v13, vcc_lo
	v_ashrrev_i32_e32 v11, 31, v10
	v_lshlrev_b64 v[10:11], 3, v[10:11]
	v_add_co_u32 v10, vcc_lo, s12, v10
	v_add_co_ci_u32_e64 v11, null, s13, v11, vcc_lo
	global_load_dwordx2 v[12:13], v[12:13], off
	global_load_dwordx2 v[10:11], v[10:11], off
	s_waitcnt vmcnt(2)
	v_fma_f64 v[1:2], v[8:9], v[6:7], v[1:2]
	s_waitcnt vmcnt(0)
	v_fma_f64 v[1:2], v[10:11], v[12:13], v[1:2]
	s_cbranch_scc1 .LBB3_2
.LBB3_3:
	v_lshl_or_b32 v3, s6, 8, v0
	v_subrev_nc_u32_e32 v3, s3, v3
	s_mov_b32 s3, exec_lo
	v_add_nc_u32_e32 v3, s5, v3
	v_cmpx_gt_i32_e64 s0, v3
	s_cbranch_execz .LBB3_7
; %bb.4:
	s_lshl_b32 s4, s2, 8
	s_mov_b32 s2, 0
	s_inst_prefetch 0x1
	.p2align	6
.LBB3_5:                                ; =>This Inner Loop Header: Depth=1
	v_ashrrev_i32_e32 v4, 31, v3
	v_lshlrev_b64 v[5:6], 2, v[3:4]
	v_lshlrev_b64 v[7:8], 3, v[3:4]
	v_add_nc_u32_e32 v3, s4, v3
	v_add_co_u32 v5, vcc_lo, s10, v5
	v_add_co_ci_u32_e64 v6, null, s11, v6, vcc_lo
	global_load_dword v5, v[5:6], off
	s_waitcnt vmcnt(0)
	v_subrev_nc_u32_e32 v5, s1, v5
	v_ashrrev_i32_e32 v6, 31, v5
	v_lshlrev_b64 v[5:6], 3, v[5:6]
	v_add_co_u32 v4, vcc_lo, s12, v5
	v_add_co_ci_u32_e64 v5, null, s13, v6, vcc_lo
	v_add_co_u32 v6, vcc_lo, s8, v7
	v_add_co_ci_u32_e64 v7, null, s9, v8, vcc_lo
	global_load_dwordx2 v[4:5], v[4:5], off
	global_load_dwordx2 v[6:7], v[6:7], off
	v_cmp_le_i32_e32 vcc_lo, s0, v3
	s_or_b32 s2, vcc_lo, s2
	s_waitcnt vmcnt(0)
	v_fma_f64 v[1:2], v[4:5], v[6:7], v[1:2]
	s_andn2_b32 exec_lo, exec_lo, s2
	s_cbranch_execnz .LBB3_5
; %bb.6:
	s_inst_prefetch 0x2
	s_or_b32 exec_lo, exec_lo, s2
.LBB3_7:
	s_or_b32 exec_lo, exec_lo, s3
	v_lshlrev_b32_e32 v3, 3, v0
	s_mov_b32 s0, exec_lo
	ds_write_b64 v3, v[1:2]
	s_waitcnt lgkmcnt(0)
	s_barrier
	buffer_gl0_inv
	v_cmpx_gt_u32_e32 0x80, v0
	s_cbranch_execz .LBB3_9
; %bb.8:
	ds_read2st64_b64 v[4:7], v3 offset1:2
	s_waitcnt lgkmcnt(0)
	v_add_f64 v[1:2], v[4:5], v[6:7]
	ds_write_b64 v3, v[1:2]
.LBB3_9:
	s_or_b32 exec_lo, exec_lo, s0
	s_mov_b32 s0, exec_lo
	s_waitcnt lgkmcnt(0)
	s_barrier
	buffer_gl0_inv
	v_cmpx_gt_u32_e32 64, v0
	s_cbranch_execz .LBB3_11
; %bb.10:
	ds_read2st64_b64 v[4:7], v3 offset1:1
	s_waitcnt lgkmcnt(0)
	v_add_f64 v[1:2], v[4:5], v[6:7]
	ds_write_b64 v3, v[1:2]
.LBB3_11:
	s_or_b32 exec_lo, exec_lo, s0
	s_mov_b32 s0, exec_lo
	s_waitcnt lgkmcnt(0)
	s_barrier
	buffer_gl0_inv
	v_cmpx_gt_u32_e32 32, v0
	s_cbranch_execz .LBB3_13
; %bb.12:
	ds_read2_b64 v[4:7], v3 offset1:32
	s_waitcnt lgkmcnt(0)
	v_add_f64 v[1:2], v[4:5], v[6:7]
	ds_write_b64 v3, v[1:2]
.LBB3_13:
	s_or_b32 exec_lo, exec_lo, s0
	s_mov_b32 s0, exec_lo
	s_waitcnt lgkmcnt(0)
	s_barrier
	buffer_gl0_inv
	v_cmpx_gt_u32_e32 16, v0
	s_cbranch_execz .LBB3_15
; %bb.14:
	ds_read2_b64 v[4:7], v3 offset1:16
	s_waitcnt lgkmcnt(0)
	v_add_f64 v[1:2], v[4:5], v[6:7]
	ds_write_b64 v3, v[1:2]
.LBB3_15:
	;; [unrolled: 13-line block ×5, first 2 shown]
	s_or_b32 exec_lo, exec_lo, s0
	v_cmp_eq_u32_e32 vcc_lo, 0, v0
	s_waitcnt lgkmcnt(0)
	s_barrier
	buffer_gl0_inv
	s_and_saveexec_b32 s0, vcc_lo
	s_cbranch_execz .LBB3_23
; %bb.22:
	v_mov_b32_e32 v4, 0
	ds_read_b128 v[0:3], v4
	s_waitcnt lgkmcnt(0)
	v_add_f64 v[0:1], v[0:1], v[2:3]
	ds_write_b64 v4, v[0:1]
.LBB3_23:
	s_or_b32 exec_lo, exec_lo, s0
	s_waitcnt lgkmcnt(0)
	s_barrier
	buffer_gl0_inv
	s_and_saveexec_b32 s0, vcc_lo
	s_cbranch_execz .LBB3_25
; %bb.24:
	v_mov_b32_e32 v2, 0
	s_mov_b32 s7, 0
	s_lshl_b64 s[0:1], s[6:7], 3
	s_add_u32 s0, s14, s0
	ds_read_b64 v[0:1], v2
	s_addc_u32 s1, s15, s1
	s_waitcnt lgkmcnt(0)
	global_store_dwordx2 v2, v[0:1], s[0:1]
.LBB3_25:
	s_endpgm
	.section	.rodata,"a",@progbits
	.p2align	6, 0x0
	.amdhsa_kernel _ZN9rocsparseL17doti_kernel_part1ILj256ELj2EidddEEvT1_PKT2_PKS1_PKT3_PT4_21rocsparse_index_base_
		.amdhsa_group_segment_fixed_size 2048
		.amdhsa_private_segment_fixed_size 0
		.amdhsa_kernarg_size 304
		.amdhsa_user_sgpr_count 6
		.amdhsa_user_sgpr_private_segment_buffer 1
		.amdhsa_user_sgpr_dispatch_ptr 0
		.amdhsa_user_sgpr_queue_ptr 0
		.amdhsa_user_sgpr_kernarg_segment_ptr 1
		.amdhsa_user_sgpr_dispatch_id 0
		.amdhsa_user_sgpr_flat_scratch_init 0
		.amdhsa_user_sgpr_private_segment_size 0
		.amdhsa_wavefront_size32 1
		.amdhsa_uses_dynamic_stack 0
		.amdhsa_system_sgpr_private_segment_wavefront_offset 0
		.amdhsa_system_sgpr_workgroup_id_x 1
		.amdhsa_system_sgpr_workgroup_id_y 0
		.amdhsa_system_sgpr_workgroup_id_z 0
		.amdhsa_system_sgpr_workgroup_info 0
		.amdhsa_system_vgpr_workitem_id 0
		.amdhsa_next_free_vgpr 14
		.amdhsa_next_free_sgpr 16
		.amdhsa_reserve_vcc 1
		.amdhsa_reserve_flat_scratch 0
		.amdhsa_float_round_mode_32 0
		.amdhsa_float_round_mode_16_64 0
		.amdhsa_float_denorm_mode_32 3
		.amdhsa_float_denorm_mode_16_64 3
		.amdhsa_dx10_clamp 1
		.amdhsa_ieee_mode 1
		.amdhsa_fp16_overflow 0
		.amdhsa_workgroup_processor_mode 1
		.amdhsa_memory_ordered 1
		.amdhsa_forward_progress 1
		.amdhsa_shared_vgpr_count 0
		.amdhsa_exception_fp_ieee_invalid_op 0
		.amdhsa_exception_fp_denorm_src 0
		.amdhsa_exception_fp_ieee_div_zero 0
		.amdhsa_exception_fp_ieee_overflow 0
		.amdhsa_exception_fp_ieee_underflow 0
		.amdhsa_exception_fp_ieee_inexact 0
		.amdhsa_exception_int_div_zero 0
	.end_amdhsa_kernel
	.section	.text._ZN9rocsparseL17doti_kernel_part1ILj256ELj2EidddEEvT1_PKT2_PKS1_PKT3_PT4_21rocsparse_index_base_,"axG",@progbits,_ZN9rocsparseL17doti_kernel_part1ILj256ELj2EidddEEvT1_PKT2_PKS1_PKT3_PT4_21rocsparse_index_base_,comdat
.Lfunc_end3:
	.size	_ZN9rocsparseL17doti_kernel_part1ILj256ELj2EidddEEvT1_PKT2_PKS1_PKT3_PT4_21rocsparse_index_base_, .Lfunc_end3-_ZN9rocsparseL17doti_kernel_part1ILj256ELj2EidddEEvT1_PKT2_PKS1_PKT3_PT4_21rocsparse_index_base_
                                        ; -- End function
	.set _ZN9rocsparseL17doti_kernel_part1ILj256ELj2EidddEEvT1_PKT2_PKS1_PKT3_PT4_21rocsparse_index_base_.num_vgpr, 14
	.set _ZN9rocsparseL17doti_kernel_part1ILj256ELj2EidddEEvT1_PKT2_PKS1_PKT3_PT4_21rocsparse_index_base_.num_agpr, 0
	.set _ZN9rocsparseL17doti_kernel_part1ILj256ELj2EidddEEvT1_PKT2_PKS1_PKT3_PT4_21rocsparse_index_base_.numbered_sgpr, 16
	.set _ZN9rocsparseL17doti_kernel_part1ILj256ELj2EidddEEvT1_PKT2_PKS1_PKT3_PT4_21rocsparse_index_base_.num_named_barrier, 0
	.set _ZN9rocsparseL17doti_kernel_part1ILj256ELj2EidddEEvT1_PKT2_PKS1_PKT3_PT4_21rocsparse_index_base_.private_seg_size, 0
	.set _ZN9rocsparseL17doti_kernel_part1ILj256ELj2EidddEEvT1_PKT2_PKS1_PKT3_PT4_21rocsparse_index_base_.uses_vcc, 1
	.set _ZN9rocsparseL17doti_kernel_part1ILj256ELj2EidddEEvT1_PKT2_PKS1_PKT3_PT4_21rocsparse_index_base_.uses_flat_scratch, 0
	.set _ZN9rocsparseL17doti_kernel_part1ILj256ELj2EidddEEvT1_PKT2_PKS1_PKT3_PT4_21rocsparse_index_base_.has_dyn_sized_stack, 0
	.set _ZN9rocsparseL17doti_kernel_part1ILj256ELj2EidddEEvT1_PKT2_PKS1_PKT3_PT4_21rocsparse_index_base_.has_recursion, 0
	.set _ZN9rocsparseL17doti_kernel_part1ILj256ELj2EidddEEvT1_PKT2_PKS1_PKT3_PT4_21rocsparse_index_base_.has_indirect_call, 0
	.section	.AMDGPU.csdata,"",@progbits
; Kernel info:
; codeLenInByte = 1172
; TotalNumSgprs: 18
; NumVgprs: 14
; ScratchSize: 0
; MemoryBound: 0
; FloatMode: 240
; IeeeMode: 1
; LDSByteSize: 2048 bytes/workgroup (compile time only)
; SGPRBlocks: 0
; VGPRBlocks: 1
; NumSGPRsForWavesPerEU: 18
; NumVGPRsForWavesPerEU: 14
; Occupancy: 16
; WaveLimiterHint : 1
; COMPUTE_PGM_RSRC2:SCRATCH_EN: 0
; COMPUTE_PGM_RSRC2:USER_SGPR: 6
; COMPUTE_PGM_RSRC2:TRAP_HANDLER: 0
; COMPUTE_PGM_RSRC2:TGID_X_EN: 1
; COMPUTE_PGM_RSRC2:TGID_Y_EN: 0
; COMPUTE_PGM_RSRC2:TGID_Z_EN: 0
; COMPUTE_PGM_RSRC2:TIDIG_COMP_CNT: 0
	.section	.text._ZN9rocsparseL17doti_kernel_part2ILj256EdEEvPT0_S2_,"axG",@progbits,_ZN9rocsparseL17doti_kernel_part2ILj256EdEEvPT0_S2_,comdat
	.globl	_ZN9rocsparseL17doti_kernel_part2ILj256EdEEvPT0_S2_ ; -- Begin function _ZN9rocsparseL17doti_kernel_part2ILj256EdEEvPT0_S2_
	.p2align	8
	.type	_ZN9rocsparseL17doti_kernel_part2ILj256EdEEvPT0_S2_,@function
_ZN9rocsparseL17doti_kernel_part2ILj256EdEEvPT0_S2_: ; @_ZN9rocsparseL17doti_kernel_part2ILj256EdEEvPT0_S2_
; %bb.0:
	s_load_dwordx4 s[0:3], s[4:5], 0x0
	v_lshlrev_b32_e32 v1, 3, v0
	s_mov_b32 s4, exec_lo
	s_waitcnt lgkmcnt(0)
	global_load_dwordx2 v[2:3], v1, s[0:1]
	s_waitcnt vmcnt(0)
	ds_write_b64 v1, v[2:3]
	s_waitcnt lgkmcnt(0)
	s_barrier
	buffer_gl0_inv
	v_cmpx_gt_u32_e32 0x80, v0
	s_cbranch_execz .LBB4_2
; %bb.1:
	ds_read2st64_b64 v[2:5], v1 offset1:2
	s_waitcnt lgkmcnt(0)
	v_add_f64 v[2:3], v[2:3], v[4:5]
	ds_write_b64 v1, v[2:3]
.LBB4_2:
	s_or_b32 exec_lo, exec_lo, s4
	s_mov_b32 s4, exec_lo
	s_waitcnt lgkmcnt(0)
	s_barrier
	buffer_gl0_inv
	v_cmpx_gt_u32_e32 64, v0
	s_cbranch_execz .LBB4_4
; %bb.3:
	ds_read2st64_b64 v[2:5], v1 offset1:1
	s_waitcnt lgkmcnt(0)
	v_add_f64 v[2:3], v[2:3], v[4:5]
	ds_write_b64 v1, v[2:3]
.LBB4_4:
	s_or_b32 exec_lo, exec_lo, s4
	s_mov_b32 s4, exec_lo
	s_waitcnt lgkmcnt(0)
	s_barrier
	buffer_gl0_inv
	v_cmpx_gt_u32_e32 32, v0
	s_cbranch_execz .LBB4_6
; %bb.5:
	ds_read2_b64 v[2:5], v1 offset1:32
	s_waitcnt lgkmcnt(0)
	v_add_f64 v[2:3], v[2:3], v[4:5]
	ds_write_b64 v1, v[2:3]
.LBB4_6:
	s_or_b32 exec_lo, exec_lo, s4
	s_mov_b32 s4, exec_lo
	s_waitcnt lgkmcnt(0)
	s_barrier
	buffer_gl0_inv
	v_cmpx_gt_u32_e32 16, v0
	s_cbranch_execz .LBB4_8
; %bb.7:
	ds_read2_b64 v[2:5], v1 offset1:16
	s_waitcnt lgkmcnt(0)
	v_add_f64 v[2:3], v[2:3], v[4:5]
	ds_write_b64 v1, v[2:3]
.LBB4_8:
	;; [unrolled: 13-line block ×5, first 2 shown]
	s_or_b32 exec_lo, exec_lo, s4
	v_cmp_eq_u32_e32 vcc_lo, 0, v0
	s_waitcnt lgkmcnt(0)
	s_barrier
	buffer_gl0_inv
	s_and_saveexec_b32 s4, vcc_lo
	s_cbranch_execz .LBB4_16
; %bb.15:
	v_mov_b32_e32 v4, 0
	ds_read_b128 v[0:3], v4
	s_waitcnt lgkmcnt(0)
	v_add_f64 v[0:1], v[0:1], v[2:3]
	ds_write_b64 v4, v[0:1]
.LBB4_16:
	s_or_b32 exec_lo, exec_lo, s4
	s_waitcnt lgkmcnt(0)
	s_barrier
	buffer_gl0_inv
	s_and_saveexec_b32 s4, vcc_lo
	s_cbranch_execz .LBB4_18
; %bb.17:
	v_mov_b32_e32 v2, 0
	s_cmp_eq_u64 s[2:3], 0
	s_cselect_b32 s1, s1, s3
	s_cselect_b32 s0, s0, s2
	ds_read_b64 v[0:1], v2
	s_waitcnt lgkmcnt(0)
	global_store_dwordx2 v2, v[0:1], s[0:1]
.LBB4_18:
	s_endpgm
	.section	.rodata,"a",@progbits
	.p2align	6, 0x0
	.amdhsa_kernel _ZN9rocsparseL17doti_kernel_part2ILj256EdEEvPT0_S2_
		.amdhsa_group_segment_fixed_size 2048
		.amdhsa_private_segment_fixed_size 0
		.amdhsa_kernarg_size 16
		.amdhsa_user_sgpr_count 6
		.amdhsa_user_sgpr_private_segment_buffer 1
		.amdhsa_user_sgpr_dispatch_ptr 0
		.amdhsa_user_sgpr_queue_ptr 0
		.amdhsa_user_sgpr_kernarg_segment_ptr 1
		.amdhsa_user_sgpr_dispatch_id 0
		.amdhsa_user_sgpr_flat_scratch_init 0
		.amdhsa_user_sgpr_private_segment_size 0
		.amdhsa_wavefront_size32 1
		.amdhsa_uses_dynamic_stack 0
		.amdhsa_system_sgpr_private_segment_wavefront_offset 0
		.amdhsa_system_sgpr_workgroup_id_x 1
		.amdhsa_system_sgpr_workgroup_id_y 0
		.amdhsa_system_sgpr_workgroup_id_z 0
		.amdhsa_system_sgpr_workgroup_info 0
		.amdhsa_system_vgpr_workitem_id 0
		.amdhsa_next_free_vgpr 6
		.amdhsa_next_free_sgpr 6
		.amdhsa_reserve_vcc 1
		.amdhsa_reserve_flat_scratch 0
		.amdhsa_float_round_mode_32 0
		.amdhsa_float_round_mode_16_64 0
		.amdhsa_float_denorm_mode_32 3
		.amdhsa_float_denorm_mode_16_64 3
		.amdhsa_dx10_clamp 1
		.amdhsa_ieee_mode 1
		.amdhsa_fp16_overflow 0
		.amdhsa_workgroup_processor_mode 1
		.amdhsa_memory_ordered 1
		.amdhsa_forward_progress 1
		.amdhsa_shared_vgpr_count 0
		.amdhsa_exception_fp_ieee_invalid_op 0
		.amdhsa_exception_fp_denorm_src 0
		.amdhsa_exception_fp_ieee_div_zero 0
		.amdhsa_exception_fp_ieee_overflow 0
		.amdhsa_exception_fp_ieee_underflow 0
		.amdhsa_exception_fp_ieee_inexact 0
		.amdhsa_exception_int_div_zero 0
	.end_amdhsa_kernel
	.section	.text._ZN9rocsparseL17doti_kernel_part2ILj256EdEEvPT0_S2_,"axG",@progbits,_ZN9rocsparseL17doti_kernel_part2ILj256EdEEvPT0_S2_,comdat
.Lfunc_end4:
	.size	_ZN9rocsparseL17doti_kernel_part2ILj256EdEEvPT0_S2_, .Lfunc_end4-_ZN9rocsparseL17doti_kernel_part2ILj256EdEEvPT0_S2_
                                        ; -- End function
	.set _ZN9rocsparseL17doti_kernel_part2ILj256EdEEvPT0_S2_.num_vgpr, 6
	.set _ZN9rocsparseL17doti_kernel_part2ILj256EdEEvPT0_S2_.num_agpr, 0
	.set _ZN9rocsparseL17doti_kernel_part2ILj256EdEEvPT0_S2_.numbered_sgpr, 6
	.set _ZN9rocsparseL17doti_kernel_part2ILj256EdEEvPT0_S2_.num_named_barrier, 0
	.set _ZN9rocsparseL17doti_kernel_part2ILj256EdEEvPT0_S2_.private_seg_size, 0
	.set _ZN9rocsparseL17doti_kernel_part2ILj256EdEEvPT0_S2_.uses_vcc, 1
	.set _ZN9rocsparseL17doti_kernel_part2ILj256EdEEvPT0_S2_.uses_flat_scratch, 0
	.set _ZN9rocsparseL17doti_kernel_part2ILj256EdEEvPT0_S2_.has_dyn_sized_stack, 0
	.set _ZN9rocsparseL17doti_kernel_part2ILj256EdEEvPT0_S2_.has_recursion, 0
	.set _ZN9rocsparseL17doti_kernel_part2ILj256EdEEvPT0_S2_.has_indirect_call, 0
	.section	.AMDGPU.csdata,"",@progbits
; Kernel info:
; codeLenInByte = 588
; TotalNumSgprs: 8
; NumVgprs: 6
; ScratchSize: 0
; MemoryBound: 0
; FloatMode: 240
; IeeeMode: 1
; LDSByteSize: 2048 bytes/workgroup (compile time only)
; SGPRBlocks: 0
; VGPRBlocks: 0
; NumSGPRsForWavesPerEU: 8
; NumVGPRsForWavesPerEU: 6
; Occupancy: 16
; WaveLimiterHint : 0
; COMPUTE_PGM_RSRC2:SCRATCH_EN: 0
; COMPUTE_PGM_RSRC2:USER_SGPR: 6
; COMPUTE_PGM_RSRC2:TRAP_HANDLER: 0
; COMPUTE_PGM_RSRC2:TGID_X_EN: 1
; COMPUTE_PGM_RSRC2:TGID_Y_EN: 0
; COMPUTE_PGM_RSRC2:TGID_Z_EN: 0
; COMPUTE_PGM_RSRC2:TIDIG_COMP_CNT: 0
	.section	.text._ZN9rocsparseL17doti_kernel_part1ILj256ELj2EldddEEvT1_PKT2_PKS1_PKT3_PT4_21rocsparse_index_base_,"axG",@progbits,_ZN9rocsparseL17doti_kernel_part1ILj256ELj2EldddEEvT1_PKT2_PKS1_PKT3_PT4_21rocsparse_index_base_,comdat
	.globl	_ZN9rocsparseL17doti_kernel_part1ILj256ELj2EldddEEvT1_PKT2_PKS1_PKT3_PT4_21rocsparse_index_base_ ; -- Begin function _ZN9rocsparseL17doti_kernel_part1ILj256ELj2EldddEEvT1_PKT2_PKS1_PKT3_PT4_21rocsparse_index_base_
	.p2align	8
	.type	_ZN9rocsparseL17doti_kernel_part1ILj256ELj2EldddEEvT1_PKT2_PKS1_PKT3_PT4_21rocsparse_index_base_,@function
_ZN9rocsparseL17doti_kernel_part1ILj256ELj2EldddEEvT1_PKT2_PKS1_PKT3_PT4_21rocsparse_index_base_: ; @_ZN9rocsparseL17doti_kernel_part1ILj256ELj2EldddEEvT1_PKT2_PKS1_PKT3_PT4_21rocsparse_index_base_
; %bb.0:
	s_clause 0x3
	s_load_dword s18, s[4:5], 0x30
	s_load_dwordx8 s[8:15], s[4:5], 0x0
	s_load_dwordx2 s[2:3], s[4:5], 0x20
	s_load_dword s7, s[4:5], 0x28
	s_mov_b32 s1, 0
	s_lshl_b32 s4, s6, 8
	v_mov_b32_e32 v1, 0
	v_or_b32_e32 v5, s4, v0
	v_mov_b32_e32 v3, 0
	v_mov_b32_e32 v2, 0
	s_waitcnt lgkmcnt(0)
	s_lshl_b32 s0, s18, 9
	v_cmp_le_i64_e64 s5, s[8:9], s[0:1]
	s_and_b32 vcc_lo, exec_lo, s5
	s_cbranch_vccnz .LBB5_3
; %bb.1:
	v_add_nc_u32_e32 v2, s4, v5
	s_lshl_b64 s[16:17], s[0:1], 3
	s_mov_b64 s[4:5], s[0:1]
	v_lshlrev_b64 v[3:4], 3, v[2:3]
	v_mov_b32_e32 v1, 0
	v_mov_b32_e32 v2, 0
.LBB5_2:                                ; =>This Inner Loop Header: Depth=1
	v_add_co_u32 v6, vcc_lo, s12, v3
	v_add_co_ci_u32_e64 v7, null, s13, v4, vcc_lo
	s_add_u32 s4, s4, s0
	s_addc_u32 s5, s5, 0
	v_cmp_lt_i64_e64 s1, s[4:5], s[8:9]
	global_load_dwordx2 v[8:9], v[6:7], off
	v_add_co_u32 v6, vcc_lo, 0x800, v6
	v_add_co_ci_u32_e64 v7, null, 0, v7, vcc_lo
	global_load_dwordx2 v[6:7], v[6:7], off
	s_waitcnt vmcnt(1)
	v_sub_co_u32 v8, vcc_lo, v8, s7
	v_subrev_co_ci_u32_e64 v9, null, 0, v9, vcc_lo
	v_add_co_u32 v10, vcc_lo, s10, v3
	v_add_co_ci_u32_e64 v11, null, s11, v4, vcc_lo
	v_lshlrev_b64 v[8:9], 3, v[8:9]
	v_add_co_u32 v8, vcc_lo, s14, v8
	v_add_co_ci_u32_e64 v9, null, s15, v9, vcc_lo
	global_load_dwordx2 v[12:13], v[10:11], off
	global_load_dwordx2 v[8:9], v[8:9], off
	s_waitcnt vmcnt(2)
	v_sub_co_u32 v6, vcc_lo, v6, s7
	v_subrev_co_ci_u32_e64 v7, null, 0, v7, vcc_lo
	v_add_co_u32 v10, vcc_lo, 0x800, v10
	v_add_co_ci_u32_e64 v11, null, 0, v11, vcc_lo
	v_lshlrev_b64 v[6:7], 3, v[6:7]
	v_add_co_u32 v6, vcc_lo, s14, v6
	v_add_co_ci_u32_e64 v7, null, s15, v7, vcc_lo
	global_load_dwordx2 v[10:11], v[10:11], off
	global_load_dwordx2 v[6:7], v[6:7], off
	v_add_co_u32 v3, vcc_lo, v3, s16
	v_add_co_ci_u32_e64 v4, null, s17, v4, vcc_lo
	s_and_b32 vcc_lo, exec_lo, s1
	s_waitcnt vmcnt(2)
	v_fma_f64 v[1:2], v[8:9], v[12:13], v[1:2]
	s_waitcnt vmcnt(0)
	v_fma_f64 v[1:2], v[6:7], v[10:11], v[1:2]
	s_cbranch_vccnz .LBB5_2
	s_branch .LBB5_4
.LBB5_3:
	s_mov_b64 s[4:5], s[0:1]
.LBB5_4:
	v_sub_co_u32 v3, s0, v5, s0
	v_sub_co_ci_u32_e64 v4, null, 0, 0, s0
	s_mov_b32 s1, exec_lo
	v_add_co_u32 v3, vcc_lo, v3, s4
	v_add_co_ci_u32_e64 v4, null, s5, v4, vcc_lo
	v_cmpx_gt_i64_e64 s[8:9], v[3:4]
	s_cbranch_execz .LBB5_8
; %bb.5:
	v_lshlrev_b64 v[5:6], 3, v[3:4]
	s_mov_b32 s5, 0
	s_lshl_b32 s4, s18, 8
	s_lshl_b64 s[16:17], s[4:5], 3
	s_inst_prefetch 0x1
	.p2align	6
.LBB5_6:                                ; =>This Inner Loop Header: Depth=1
	v_add_co_u32 v7, vcc_lo, s12, v5
	v_add_co_ci_u32_e64 v8, null, s13, v6, vcc_lo
	global_load_dwordx2 v[7:8], v[7:8], off
	s_waitcnt vmcnt(0)
	v_sub_co_u32 v7, vcc_lo, v7, s7
	v_subrev_co_ci_u32_e64 v8, null, 0, v8, vcc_lo
	v_add_co_u32 v9, vcc_lo, s10, v5
	v_add_co_ci_u32_e64 v10, null, s11, v6, vcc_lo
	v_lshlrev_b64 v[7:8], 3, v[7:8]
	v_add_co_u32 v5, s0, v5, s16
	v_add_co_ci_u32_e64 v6, null, s17, v6, s0
	v_add_co_u32 v7, vcc_lo, s14, v7
	v_add_co_ci_u32_e64 v8, null, s15, v8, vcc_lo
	v_add_co_u32 v3, vcc_lo, v3, s4
	global_load_dwordx2 v[9:10], v[9:10], off
	global_load_dwordx2 v[7:8], v[7:8], off
	v_add_co_ci_u32_e64 v4, null, 0, v4, vcc_lo
	v_cmp_le_i64_e32 vcc_lo, s[8:9], v[3:4]
	s_or_b32 s5, vcc_lo, s5
	s_waitcnt vmcnt(0)
	v_fma_f64 v[1:2], v[7:8], v[9:10], v[1:2]
	s_andn2_b32 exec_lo, exec_lo, s5
	s_cbranch_execnz .LBB5_6
; %bb.7:
	s_inst_prefetch 0x2
	s_or_b32 exec_lo, exec_lo, s5
.LBB5_8:
	s_or_b32 exec_lo, exec_lo, s1
	v_lshlrev_b32_e32 v3, 3, v0
	s_mov_b32 s0, exec_lo
	ds_write_b64 v3, v[1:2]
	s_waitcnt lgkmcnt(0)
	s_barrier
	buffer_gl0_inv
	v_cmpx_gt_u32_e32 0x80, v0
	s_cbranch_execz .LBB5_10
; %bb.9:
	ds_read2st64_b64 v[4:7], v3 offset1:2
	s_waitcnt lgkmcnt(0)
	v_add_f64 v[1:2], v[4:5], v[6:7]
	ds_write_b64 v3, v[1:2]
.LBB5_10:
	s_or_b32 exec_lo, exec_lo, s0
	s_mov_b32 s0, exec_lo
	s_waitcnt lgkmcnt(0)
	s_barrier
	buffer_gl0_inv
	v_cmpx_gt_u32_e32 64, v0
	s_cbranch_execz .LBB5_12
; %bb.11:
	ds_read2st64_b64 v[4:7], v3 offset1:1
	s_waitcnt lgkmcnt(0)
	v_add_f64 v[1:2], v[4:5], v[6:7]
	ds_write_b64 v3, v[1:2]
.LBB5_12:
	s_or_b32 exec_lo, exec_lo, s0
	s_mov_b32 s0, exec_lo
	s_waitcnt lgkmcnt(0)
	s_barrier
	buffer_gl0_inv
	v_cmpx_gt_u32_e32 32, v0
	s_cbranch_execz .LBB5_14
; %bb.13:
	ds_read2_b64 v[4:7], v3 offset1:32
	s_waitcnt lgkmcnt(0)
	v_add_f64 v[1:2], v[4:5], v[6:7]
	ds_write_b64 v3, v[1:2]
.LBB5_14:
	s_or_b32 exec_lo, exec_lo, s0
	s_mov_b32 s0, exec_lo
	s_waitcnt lgkmcnt(0)
	s_barrier
	buffer_gl0_inv
	v_cmpx_gt_u32_e32 16, v0
	s_cbranch_execz .LBB5_16
; %bb.15:
	ds_read2_b64 v[4:7], v3 offset1:16
	s_waitcnt lgkmcnt(0)
	v_add_f64 v[1:2], v[4:5], v[6:7]
	ds_write_b64 v3, v[1:2]
.LBB5_16:
	s_or_b32 exec_lo, exec_lo, s0
	s_mov_b32 s0, exec_lo
	s_waitcnt lgkmcnt(0)
	s_barrier
	buffer_gl0_inv
	v_cmpx_gt_u32_e32 8, v0
	s_cbranch_execz .LBB5_18
; %bb.17:
	ds_read2_b64 v[4:7], v3 offset1:8
	s_waitcnt lgkmcnt(0)
	v_add_f64 v[1:2], v[4:5], v[6:7]
	ds_write_b64 v3, v[1:2]
.LBB5_18:
	s_or_b32 exec_lo, exec_lo, s0
	s_mov_b32 s0, exec_lo
	s_waitcnt lgkmcnt(0)
	s_barrier
	buffer_gl0_inv
	v_cmpx_gt_u32_e32 4, v0
	s_cbranch_execz .LBB5_20
; %bb.19:
	ds_read2_b64 v[4:7], v3 offset1:4
	s_waitcnt lgkmcnt(0)
	v_add_f64 v[1:2], v[4:5], v[6:7]
	ds_write_b64 v3, v[1:2]
.LBB5_20:
	s_or_b32 exec_lo, exec_lo, s0
	s_mov_b32 s0, exec_lo
	s_waitcnt lgkmcnt(0)
	s_barrier
	buffer_gl0_inv
	v_cmpx_gt_u32_e32 2, v0
	s_cbranch_execz .LBB5_22
; %bb.21:
	ds_read2_b64 v[4:7], v3 offset1:2
	s_waitcnt lgkmcnt(0)
	v_add_f64 v[1:2], v[4:5], v[6:7]
	ds_write_b64 v3, v[1:2]
.LBB5_22:
	s_or_b32 exec_lo, exec_lo, s0
	v_cmp_eq_u32_e32 vcc_lo, 0, v0
	s_waitcnt lgkmcnt(0)
	s_barrier
	buffer_gl0_inv
	s_and_saveexec_b32 s0, vcc_lo
	s_cbranch_execz .LBB5_24
; %bb.23:
	v_mov_b32_e32 v4, 0
	ds_read_b128 v[0:3], v4
	s_waitcnt lgkmcnt(0)
	v_add_f64 v[0:1], v[0:1], v[2:3]
	ds_write_b64 v4, v[0:1]
.LBB5_24:
	s_or_b32 exec_lo, exec_lo, s0
	s_waitcnt lgkmcnt(0)
	s_barrier
	buffer_gl0_inv
	s_and_saveexec_b32 s0, vcc_lo
	s_cbranch_execz .LBB5_26
; %bb.25:
	v_mov_b32_e32 v2, 0
	s_mov_b32 s7, 0
	s_lshl_b64 s[0:1], s[6:7], 3
	s_add_u32 s0, s2, s0
	ds_read_b64 v[0:1], v2
	s_addc_u32 s1, s3, s1
	s_waitcnt lgkmcnt(0)
	global_store_dwordx2 v2, v[0:1], s[0:1]
.LBB5_26:
	s_endpgm
	.section	.rodata,"a",@progbits
	.p2align	6, 0x0
	.amdhsa_kernel _ZN9rocsparseL17doti_kernel_part1ILj256ELj2EldddEEvT1_PKT2_PKS1_PKT3_PT4_21rocsparse_index_base_
		.amdhsa_group_segment_fixed_size 2048
		.amdhsa_private_segment_fixed_size 0
		.amdhsa_kernarg_size 304
		.amdhsa_user_sgpr_count 6
		.amdhsa_user_sgpr_private_segment_buffer 1
		.amdhsa_user_sgpr_dispatch_ptr 0
		.amdhsa_user_sgpr_queue_ptr 0
		.amdhsa_user_sgpr_kernarg_segment_ptr 1
		.amdhsa_user_sgpr_dispatch_id 0
		.amdhsa_user_sgpr_flat_scratch_init 0
		.amdhsa_user_sgpr_private_segment_size 0
		.amdhsa_wavefront_size32 1
		.amdhsa_uses_dynamic_stack 0
		.amdhsa_system_sgpr_private_segment_wavefront_offset 0
		.amdhsa_system_sgpr_workgroup_id_x 1
		.amdhsa_system_sgpr_workgroup_id_y 0
		.amdhsa_system_sgpr_workgroup_id_z 0
		.amdhsa_system_sgpr_workgroup_info 0
		.amdhsa_system_vgpr_workitem_id 0
		.amdhsa_next_free_vgpr 14
		.amdhsa_next_free_sgpr 19
		.amdhsa_reserve_vcc 1
		.amdhsa_reserve_flat_scratch 0
		.amdhsa_float_round_mode_32 0
		.amdhsa_float_round_mode_16_64 0
		.amdhsa_float_denorm_mode_32 3
		.amdhsa_float_denorm_mode_16_64 3
		.amdhsa_dx10_clamp 1
		.amdhsa_ieee_mode 1
		.amdhsa_fp16_overflow 0
		.amdhsa_workgroup_processor_mode 1
		.amdhsa_memory_ordered 1
		.amdhsa_forward_progress 1
		.amdhsa_shared_vgpr_count 0
		.amdhsa_exception_fp_ieee_invalid_op 0
		.amdhsa_exception_fp_denorm_src 0
		.amdhsa_exception_fp_ieee_div_zero 0
		.amdhsa_exception_fp_ieee_overflow 0
		.amdhsa_exception_fp_ieee_underflow 0
		.amdhsa_exception_fp_ieee_inexact 0
		.amdhsa_exception_int_div_zero 0
	.end_amdhsa_kernel
	.section	.text._ZN9rocsparseL17doti_kernel_part1ILj256ELj2EldddEEvT1_PKT2_PKS1_PKT3_PT4_21rocsparse_index_base_,"axG",@progbits,_ZN9rocsparseL17doti_kernel_part1ILj256ELj2EldddEEvT1_PKT2_PKS1_PKT3_PT4_21rocsparse_index_base_,comdat
.Lfunc_end5:
	.size	_ZN9rocsparseL17doti_kernel_part1ILj256ELj2EldddEEvT1_PKT2_PKS1_PKT3_PT4_21rocsparse_index_base_, .Lfunc_end5-_ZN9rocsparseL17doti_kernel_part1ILj256ELj2EldddEEvT1_PKT2_PKS1_PKT3_PT4_21rocsparse_index_base_
                                        ; -- End function
	.set _ZN9rocsparseL17doti_kernel_part1ILj256ELj2EldddEEvT1_PKT2_PKS1_PKT3_PT4_21rocsparse_index_base_.num_vgpr, 14
	.set _ZN9rocsparseL17doti_kernel_part1ILj256ELj2EldddEEvT1_PKT2_PKS1_PKT3_PT4_21rocsparse_index_base_.num_agpr, 0
	.set _ZN9rocsparseL17doti_kernel_part1ILj256ELj2EldddEEvT1_PKT2_PKS1_PKT3_PT4_21rocsparse_index_base_.numbered_sgpr, 19
	.set _ZN9rocsparseL17doti_kernel_part1ILj256ELj2EldddEEvT1_PKT2_PKS1_PKT3_PT4_21rocsparse_index_base_.num_named_barrier, 0
	.set _ZN9rocsparseL17doti_kernel_part1ILj256ELj2EldddEEvT1_PKT2_PKS1_PKT3_PT4_21rocsparse_index_base_.private_seg_size, 0
	.set _ZN9rocsparseL17doti_kernel_part1ILj256ELj2EldddEEvT1_PKT2_PKS1_PKT3_PT4_21rocsparse_index_base_.uses_vcc, 1
	.set _ZN9rocsparseL17doti_kernel_part1ILj256ELj2EldddEEvT1_PKT2_PKS1_PKT3_PT4_21rocsparse_index_base_.uses_flat_scratch, 0
	.set _ZN9rocsparseL17doti_kernel_part1ILj256ELj2EldddEEvT1_PKT2_PKS1_PKT3_PT4_21rocsparse_index_base_.has_dyn_sized_stack, 0
	.set _ZN9rocsparseL17doti_kernel_part1ILj256ELj2EldddEEvT1_PKT2_PKS1_PKT3_PT4_21rocsparse_index_base_.has_recursion, 0
	.set _ZN9rocsparseL17doti_kernel_part1ILj256ELj2EldddEEvT1_PKT2_PKS1_PKT3_PT4_21rocsparse_index_base_.has_indirect_call, 0
	.section	.AMDGPU.csdata,"",@progbits
; Kernel info:
; codeLenInByte = 1252
; TotalNumSgprs: 21
; NumVgprs: 14
; ScratchSize: 0
; MemoryBound: 1
; FloatMode: 240
; IeeeMode: 1
; LDSByteSize: 2048 bytes/workgroup (compile time only)
; SGPRBlocks: 0
; VGPRBlocks: 1
; NumSGPRsForWavesPerEU: 21
; NumVGPRsForWavesPerEU: 14
; Occupancy: 16
; WaveLimiterHint : 1
; COMPUTE_PGM_RSRC2:SCRATCH_EN: 0
; COMPUTE_PGM_RSRC2:USER_SGPR: 6
; COMPUTE_PGM_RSRC2:TRAP_HANDLER: 0
; COMPUTE_PGM_RSRC2:TGID_X_EN: 1
; COMPUTE_PGM_RSRC2:TGID_Y_EN: 0
; COMPUTE_PGM_RSRC2:TGID_Z_EN: 0
; COMPUTE_PGM_RSRC2:TIDIG_COMP_CNT: 0
	.section	.text._ZN9rocsparseL17doti_kernel_part1ILj256ELj2Ei21rocsparse_complex_numIfES2_S2_EEvT1_PKT2_PKS3_PKT3_PT4_21rocsparse_index_base_,"axG",@progbits,_ZN9rocsparseL17doti_kernel_part1ILj256ELj2Ei21rocsparse_complex_numIfES2_S2_EEvT1_PKT2_PKS3_PKT3_PT4_21rocsparse_index_base_,comdat
	.globl	_ZN9rocsparseL17doti_kernel_part1ILj256ELj2Ei21rocsparse_complex_numIfES2_S2_EEvT1_PKT2_PKS3_PKT3_PT4_21rocsparse_index_base_ ; -- Begin function _ZN9rocsparseL17doti_kernel_part1ILj256ELj2Ei21rocsparse_complex_numIfES2_S2_EEvT1_PKT2_PKS3_PKT3_PT4_21rocsparse_index_base_
	.p2align	8
	.type	_ZN9rocsparseL17doti_kernel_part1ILj256ELj2Ei21rocsparse_complex_numIfES2_S2_EEvT1_PKT2_PKS3_PKT3_PT4_21rocsparse_index_base_,@function
_ZN9rocsparseL17doti_kernel_part1ILj256ELj2Ei21rocsparse_complex_numIfES2_S2_EEvT1_PKT2_PKS3_PKT3_PT4_21rocsparse_index_base_: ; @_ZN9rocsparseL17doti_kernel_part1ILj256ELj2Ei21rocsparse_complex_numIfES2_S2_EEvT1_PKT2_PKS3_PKT3_PT4_21rocsparse_index_base_
; %bb.0:
	s_clause 0x3
	s_load_dword s2, s[4:5], 0x30
	s_load_dword s0, s[4:5], 0x0
	;; [unrolled: 1-line block ×3, first 2 shown]
	s_load_dwordx8 s[8:15], s[4:5], 0x8
	v_mov_b32_e32 v1, 0
	v_mov_b32_e32 v2, v1
	s_waitcnt lgkmcnt(0)
	s_lshl_b32 s3, s2, 9
	s_cmp_ge_i32 s3, s0
	s_mov_b32 s5, s3
	s_cbranch_scc1 .LBB6_3
; %bb.1:
	v_lshl_or_b32 v5, s6, 9, v0
	v_mov_b32_e32 v4, 0
	v_mov_b32_e32 v1, 0
	;; [unrolled: 1-line block ×3, first 2 shown]
	s_mov_b32 s4, 0
.LBB6_2:                                ; =>This Inner Loop Header: Depth=1
	v_add_nc_u32_e32 v3, s4, v5
	s_add_i32 s4, s4, s3
	s_add_i32 s5, s3, s4
	s_cmp_lt_i32 s5, s0
	v_lshlrev_b64 v[6:7], 2, v[3:4]
	v_lshlrev_b64 v[8:9], 3, v[3:4]
	v_add_nc_u32_e32 v3, 0x100, v3
	v_add_co_u32 v6, vcc_lo, s10, v6
	v_add_co_ci_u32_e64 v7, null, s11, v7, vcc_lo
	v_lshlrev_b64 v[10:11], 2, v[3:4]
	global_load_dword v12, v[6:7], off
	v_add_co_u32 v6, vcc_lo, s10, v10
	v_add_co_ci_u32_e64 v7, null, s11, v11, vcc_lo
	v_add_co_u32 v8, vcc_lo, s8, v8
	v_add_co_ci_u32_e64 v9, null, s9, v9, vcc_lo
	global_load_dword v13, v[6:7], off
	v_lshlrev_b64 v[6:7], 3, v[3:4]
	global_load_dwordx2 v[8:9], v[8:9], off
	v_add_co_u32 v6, vcc_lo, s8, v6
	v_add_co_ci_u32_e64 v7, null, s9, v7, vcc_lo
	s_waitcnt vmcnt(2)
	v_subrev_nc_u32_e32 v10, s1, v12
	v_ashrrev_i32_e32 v11, 31, v10
	v_lshlrev_b64 v[10:11], 3, v[10:11]
	s_waitcnt vmcnt(1)
	v_subrev_nc_u32_e32 v12, s1, v13
	v_ashrrev_i32_e32 v13, 31, v12
	v_add_co_u32 v10, vcc_lo, s12, v10
	v_add_co_ci_u32_e64 v11, null, s13, v11, vcc_lo
	v_lshlrev_b64 v[12:13], 3, v[12:13]
	global_load_dwordx2 v[10:11], v[10:11], off
	v_add_co_u32 v12, vcc_lo, s12, v12
	v_add_co_ci_u32_e64 v13, null, s13, v13, vcc_lo
	global_load_dwordx2 v[6:7], v[6:7], off
	global_load_dwordx2 v[12:13], v[12:13], off
	s_waitcnt vmcnt(2)
	v_fmac_f32_e32 v1, v10, v8
	v_fmac_f32_e32 v2, v11, v8
	v_fma_f32 v1, -v11, v9, v1
	v_fmac_f32_e32 v2, v10, v9
	s_waitcnt vmcnt(0)
	v_fmac_f32_e32 v1, v12, v6
	v_fmac_f32_e32 v2, v13, v6
	v_fma_f32 v1, -v13, v7, v1
	v_fmac_f32_e32 v2, v12, v7
	s_cbranch_scc1 .LBB6_2
.LBB6_3:
	v_lshl_or_b32 v3, s6, 8, v0
	v_subrev_nc_u32_e32 v3, s3, v3
	s_mov_b32 s3, exec_lo
	v_add_nc_u32_e32 v3, s5, v3
	v_cmpx_gt_i32_e64 s0, v3
	s_cbranch_execz .LBB6_7
; %bb.4:
	s_lshl_b32 s4, s2, 8
	s_mov_b32 s2, 0
	s_inst_prefetch 0x1
	.p2align	6
.LBB6_5:                                ; =>This Inner Loop Header: Depth=1
	v_ashrrev_i32_e32 v4, 31, v3
	v_lshlrev_b64 v[5:6], 2, v[3:4]
	v_lshlrev_b64 v[7:8], 3, v[3:4]
	v_add_nc_u32_e32 v3, s4, v3
	v_add_co_u32 v5, vcc_lo, s10, v5
	v_add_co_ci_u32_e64 v6, null, s11, v6, vcc_lo
	global_load_dword v5, v[5:6], off
	s_waitcnt vmcnt(0)
	v_subrev_nc_u32_e32 v5, s1, v5
	v_ashrrev_i32_e32 v6, 31, v5
	v_lshlrev_b64 v[4:5], 3, v[5:6]
	v_add_co_u32 v6, vcc_lo, s8, v7
	v_add_co_ci_u32_e64 v7, null, s9, v8, vcc_lo
	v_add_co_u32 v4, vcc_lo, s12, v4
	v_add_co_ci_u32_e64 v5, null, s13, v5, vcc_lo
	v_cmp_le_i32_e32 vcc_lo, s0, v3
	global_load_dwordx2 v[6:7], v[6:7], off
	global_load_dwordx2 v[4:5], v[4:5], off
	s_or_b32 s2, vcc_lo, s2
	s_waitcnt vmcnt(0)
	v_fmac_f32_e32 v1, v4, v6
	v_fmac_f32_e32 v2, v5, v6
	v_fma_f32 v1, -v5, v7, v1
	v_fmac_f32_e32 v2, v4, v7
	s_andn2_b32 exec_lo, exec_lo, s2
	s_cbranch_execnz .LBB6_5
; %bb.6:
	s_inst_prefetch 0x2
	s_or_b32 exec_lo, exec_lo, s2
.LBB6_7:
	s_or_b32 exec_lo, exec_lo, s3
	v_lshlrev_b32_e32 v3, 3, v0
	s_mov_b32 s0, exec_lo
	ds_write_b64 v3, v[1:2]
	s_waitcnt lgkmcnt(0)
	s_barrier
	buffer_gl0_inv
	v_cmpx_gt_u32_e32 0x80, v0
	s_cbranch_execz .LBB6_9
; %bb.8:
	ds_read2st64_b64 v[4:7], v3 offset1:2
	s_waitcnt lgkmcnt(0)
	v_add_f32_e32 v1, v6, v4
	v_add_f32_e32 v2, v7, v5
	ds_write_b64 v3, v[1:2]
.LBB6_9:
	s_or_b32 exec_lo, exec_lo, s0
	s_mov_b32 s0, exec_lo
	s_waitcnt lgkmcnt(0)
	s_barrier
	buffer_gl0_inv
	v_cmpx_gt_u32_e32 64, v0
	s_cbranch_execz .LBB6_11
; %bb.10:
	ds_read2st64_b64 v[4:7], v3 offset1:1
	s_waitcnt lgkmcnt(0)
	v_add_f32_e32 v1, v6, v4
	v_add_f32_e32 v2, v7, v5
	ds_write_b64 v3, v[1:2]
.LBB6_11:
	s_or_b32 exec_lo, exec_lo, s0
	s_mov_b32 s0, exec_lo
	s_waitcnt lgkmcnt(0)
	s_barrier
	buffer_gl0_inv
	v_cmpx_gt_u32_e32 32, v0
	s_cbranch_execz .LBB6_13
; %bb.12:
	ds_read2_b64 v[4:7], v3 offset1:32
	s_waitcnt lgkmcnt(0)
	v_add_f32_e32 v1, v6, v4
	v_add_f32_e32 v2, v7, v5
	ds_write_b64 v3, v[1:2]
.LBB6_13:
	s_or_b32 exec_lo, exec_lo, s0
	s_mov_b32 s0, exec_lo
	s_waitcnt lgkmcnt(0)
	s_barrier
	buffer_gl0_inv
	v_cmpx_gt_u32_e32 16, v0
	s_cbranch_execz .LBB6_15
; %bb.14:
	ds_read2_b64 v[4:7], v3 offset1:16
	s_waitcnt lgkmcnt(0)
	v_add_f32_e32 v1, v6, v4
	v_add_f32_e32 v2, v7, v5
	ds_write_b64 v3, v[1:2]
.LBB6_15:
	;; [unrolled: 14-line block ×5, first 2 shown]
	s_or_b32 exec_lo, exec_lo, s0
	v_cmp_eq_u32_e32 vcc_lo, 0, v0
	s_waitcnt lgkmcnt(0)
	s_barrier
	buffer_gl0_inv
	s_and_saveexec_b32 s0, vcc_lo
	s_cbranch_execz .LBB6_23
; %bb.22:
	v_mov_b32_e32 v4, 0
	ds_read2_b64 v[0:3], v4 offset1:1
	s_waitcnt lgkmcnt(0)
	v_add_f32_e32 v0, v2, v0
	v_add_f32_e32 v1, v3, v1
	ds_write_b64 v4, v[0:1]
.LBB6_23:
	s_or_b32 exec_lo, exec_lo, s0
	s_waitcnt lgkmcnt(0)
	s_barrier
	buffer_gl0_inv
	s_and_saveexec_b32 s0, vcc_lo
	s_cbranch_execz .LBB6_25
; %bb.24:
	v_mov_b32_e32 v2, 0
	s_mov_b32 s7, 0
	s_lshl_b64 s[0:1], s[6:7], 3
	s_add_u32 s0, s14, s0
	ds_read_b64 v[0:1], v2
	s_addc_u32 s1, s15, s1
	s_waitcnt lgkmcnt(0)
	global_store_dwordx2 v2, v[0:1], s[0:1]
.LBB6_25:
	s_endpgm
	.section	.rodata,"a",@progbits
	.p2align	6, 0x0
	.amdhsa_kernel _ZN9rocsparseL17doti_kernel_part1ILj256ELj2Ei21rocsparse_complex_numIfES2_S2_EEvT1_PKT2_PKS3_PKT3_PT4_21rocsparse_index_base_
		.amdhsa_group_segment_fixed_size 2048
		.amdhsa_private_segment_fixed_size 0
		.amdhsa_kernarg_size 304
		.amdhsa_user_sgpr_count 6
		.amdhsa_user_sgpr_private_segment_buffer 1
		.amdhsa_user_sgpr_dispatch_ptr 0
		.amdhsa_user_sgpr_queue_ptr 0
		.amdhsa_user_sgpr_kernarg_segment_ptr 1
		.amdhsa_user_sgpr_dispatch_id 0
		.amdhsa_user_sgpr_flat_scratch_init 0
		.amdhsa_user_sgpr_private_segment_size 0
		.amdhsa_wavefront_size32 1
		.amdhsa_uses_dynamic_stack 0
		.amdhsa_system_sgpr_private_segment_wavefront_offset 0
		.amdhsa_system_sgpr_workgroup_id_x 1
		.amdhsa_system_sgpr_workgroup_id_y 0
		.amdhsa_system_sgpr_workgroup_id_z 0
		.amdhsa_system_sgpr_workgroup_info 0
		.amdhsa_system_vgpr_workitem_id 0
		.amdhsa_next_free_vgpr 14
		.amdhsa_next_free_sgpr 16
		.amdhsa_reserve_vcc 1
		.amdhsa_reserve_flat_scratch 0
		.amdhsa_float_round_mode_32 0
		.amdhsa_float_round_mode_16_64 0
		.amdhsa_float_denorm_mode_32 3
		.amdhsa_float_denorm_mode_16_64 3
		.amdhsa_dx10_clamp 1
		.amdhsa_ieee_mode 1
		.amdhsa_fp16_overflow 0
		.amdhsa_workgroup_processor_mode 1
		.amdhsa_memory_ordered 1
		.amdhsa_forward_progress 1
		.amdhsa_shared_vgpr_count 0
		.amdhsa_exception_fp_ieee_invalid_op 0
		.amdhsa_exception_fp_denorm_src 0
		.amdhsa_exception_fp_ieee_div_zero 0
		.amdhsa_exception_fp_ieee_overflow 0
		.amdhsa_exception_fp_ieee_underflow 0
		.amdhsa_exception_fp_ieee_inexact 0
		.amdhsa_exception_int_div_zero 0
	.end_amdhsa_kernel
	.section	.text._ZN9rocsparseL17doti_kernel_part1ILj256ELj2Ei21rocsparse_complex_numIfES2_S2_EEvT1_PKT2_PKS3_PKT3_PT4_21rocsparse_index_base_,"axG",@progbits,_ZN9rocsparseL17doti_kernel_part1ILj256ELj2Ei21rocsparse_complex_numIfES2_S2_EEvT1_PKT2_PKS3_PKT3_PT4_21rocsparse_index_base_,comdat
.Lfunc_end6:
	.size	_ZN9rocsparseL17doti_kernel_part1ILj256ELj2Ei21rocsparse_complex_numIfES2_S2_EEvT1_PKT2_PKS3_PKT3_PT4_21rocsparse_index_base_, .Lfunc_end6-_ZN9rocsparseL17doti_kernel_part1ILj256ELj2Ei21rocsparse_complex_numIfES2_S2_EEvT1_PKT2_PKS3_PKT3_PT4_21rocsparse_index_base_
                                        ; -- End function
	.set _ZN9rocsparseL17doti_kernel_part1ILj256ELj2Ei21rocsparse_complex_numIfES2_S2_EEvT1_PKT2_PKS3_PKT3_PT4_21rocsparse_index_base_.num_vgpr, 14
	.set _ZN9rocsparseL17doti_kernel_part1ILj256ELj2Ei21rocsparse_complex_numIfES2_S2_EEvT1_PKT2_PKS3_PKT3_PT4_21rocsparse_index_base_.num_agpr, 0
	.set _ZN9rocsparseL17doti_kernel_part1ILj256ELj2Ei21rocsparse_complex_numIfES2_S2_EEvT1_PKT2_PKS3_PKT3_PT4_21rocsparse_index_base_.numbered_sgpr, 16
	.set _ZN9rocsparseL17doti_kernel_part1ILj256ELj2Ei21rocsparse_complex_numIfES2_S2_EEvT1_PKT2_PKS3_PKT3_PT4_21rocsparse_index_base_.num_named_barrier, 0
	.set _ZN9rocsparseL17doti_kernel_part1ILj256ELj2Ei21rocsparse_complex_numIfES2_S2_EEvT1_PKT2_PKS3_PKT3_PT4_21rocsparse_index_base_.private_seg_size, 0
	.set _ZN9rocsparseL17doti_kernel_part1ILj256ELj2Ei21rocsparse_complex_numIfES2_S2_EEvT1_PKT2_PKS3_PKT3_PT4_21rocsparse_index_base_.uses_vcc, 1
	.set _ZN9rocsparseL17doti_kernel_part1ILj256ELj2Ei21rocsparse_complex_numIfES2_S2_EEvT1_PKT2_PKS3_PKT3_PT4_21rocsparse_index_base_.uses_flat_scratch, 0
	.set _ZN9rocsparseL17doti_kernel_part1ILj256ELj2Ei21rocsparse_complex_numIfES2_S2_EEvT1_PKT2_PKS3_PKT3_PT4_21rocsparse_index_base_.has_dyn_sized_stack, 0
	.set _ZN9rocsparseL17doti_kernel_part1ILj256ELj2Ei21rocsparse_complex_numIfES2_S2_EEvT1_PKT2_PKS3_PKT3_PT4_21rocsparse_index_base_.has_recursion, 0
	.set _ZN9rocsparseL17doti_kernel_part1ILj256ELj2Ei21rocsparse_complex_numIfES2_S2_EEvT1_PKT2_PKS3_PKT3_PT4_21rocsparse_index_base_.has_indirect_call, 0
	.section	.AMDGPU.csdata,"",@progbits
; Kernel info:
; codeLenInByte = 1184
; TotalNumSgprs: 18
; NumVgprs: 14
; ScratchSize: 0
; MemoryBound: 0
; FloatMode: 240
; IeeeMode: 1
; LDSByteSize: 2048 bytes/workgroup (compile time only)
; SGPRBlocks: 0
; VGPRBlocks: 1
; NumSGPRsForWavesPerEU: 18
; NumVGPRsForWavesPerEU: 14
; Occupancy: 16
; WaveLimiterHint : 1
; COMPUTE_PGM_RSRC2:SCRATCH_EN: 0
; COMPUTE_PGM_RSRC2:USER_SGPR: 6
; COMPUTE_PGM_RSRC2:TRAP_HANDLER: 0
; COMPUTE_PGM_RSRC2:TGID_X_EN: 1
; COMPUTE_PGM_RSRC2:TGID_Y_EN: 0
; COMPUTE_PGM_RSRC2:TGID_Z_EN: 0
; COMPUTE_PGM_RSRC2:TIDIG_COMP_CNT: 0
	.section	.text._ZN9rocsparseL17doti_kernel_part2ILj256E21rocsparse_complex_numIfEEEvPT0_S4_,"axG",@progbits,_ZN9rocsparseL17doti_kernel_part2ILj256E21rocsparse_complex_numIfEEEvPT0_S4_,comdat
	.globl	_ZN9rocsparseL17doti_kernel_part2ILj256E21rocsparse_complex_numIfEEEvPT0_S4_ ; -- Begin function _ZN9rocsparseL17doti_kernel_part2ILj256E21rocsparse_complex_numIfEEEvPT0_S4_
	.p2align	8
	.type	_ZN9rocsparseL17doti_kernel_part2ILj256E21rocsparse_complex_numIfEEEvPT0_S4_,@function
_ZN9rocsparseL17doti_kernel_part2ILj256E21rocsparse_complex_numIfEEEvPT0_S4_: ; @_ZN9rocsparseL17doti_kernel_part2ILj256E21rocsparse_complex_numIfEEEvPT0_S4_
; %bb.0:
	s_load_dwordx4 s[0:3], s[4:5], 0x0
	v_lshlrev_b32_e32 v1, 3, v0
	s_mov_b32 s4, exec_lo
	s_waitcnt lgkmcnt(0)
	global_load_dwordx2 v[2:3], v1, s[0:1]
	s_waitcnt vmcnt(0)
	ds_write_b64 v1, v[2:3]
	s_waitcnt lgkmcnt(0)
	s_barrier
	buffer_gl0_inv
	v_cmpx_gt_u32_e32 0x80, v0
	s_cbranch_execz .LBB7_2
; %bb.1:
	ds_read2st64_b64 v[2:5], v1 offset1:2
	s_waitcnt lgkmcnt(0)
	v_add_f32_e32 v2, v4, v2
	v_add_f32_e32 v3, v5, v3
	ds_write_b64 v1, v[2:3]
.LBB7_2:
	s_or_b32 exec_lo, exec_lo, s4
	s_mov_b32 s4, exec_lo
	s_waitcnt lgkmcnt(0)
	s_barrier
	buffer_gl0_inv
	v_cmpx_gt_u32_e32 64, v0
	s_cbranch_execz .LBB7_4
; %bb.3:
	ds_read2st64_b64 v[2:5], v1 offset1:1
	s_waitcnt lgkmcnt(0)
	v_add_f32_e32 v2, v4, v2
	v_add_f32_e32 v3, v5, v3
	ds_write_b64 v1, v[2:3]
.LBB7_4:
	s_or_b32 exec_lo, exec_lo, s4
	s_mov_b32 s4, exec_lo
	s_waitcnt lgkmcnt(0)
	s_barrier
	buffer_gl0_inv
	v_cmpx_gt_u32_e32 32, v0
	s_cbranch_execz .LBB7_6
; %bb.5:
	ds_read2_b64 v[2:5], v1 offset1:32
	s_waitcnt lgkmcnt(0)
	v_add_f32_e32 v2, v4, v2
	v_add_f32_e32 v3, v5, v3
	ds_write_b64 v1, v[2:3]
.LBB7_6:
	s_or_b32 exec_lo, exec_lo, s4
	s_mov_b32 s4, exec_lo
	s_waitcnt lgkmcnt(0)
	s_barrier
	buffer_gl0_inv
	v_cmpx_gt_u32_e32 16, v0
	s_cbranch_execz .LBB7_8
; %bb.7:
	ds_read2_b64 v[2:5], v1 offset1:16
	s_waitcnt lgkmcnt(0)
	v_add_f32_e32 v2, v4, v2
	v_add_f32_e32 v3, v5, v3
	ds_write_b64 v1, v[2:3]
.LBB7_8:
	;; [unrolled: 14-line block ×5, first 2 shown]
	s_or_b32 exec_lo, exec_lo, s4
	v_cmp_eq_u32_e32 vcc_lo, 0, v0
	s_waitcnt lgkmcnt(0)
	s_barrier
	buffer_gl0_inv
	s_and_saveexec_b32 s4, vcc_lo
	s_cbranch_execz .LBB7_16
; %bb.15:
	v_mov_b32_e32 v4, 0
	ds_read2_b64 v[0:3], v4 offset1:1
	s_waitcnt lgkmcnt(0)
	v_add_f32_e32 v0, v2, v0
	v_add_f32_e32 v1, v3, v1
	ds_write_b64 v4, v[0:1]
.LBB7_16:
	s_or_b32 exec_lo, exec_lo, s4
	s_waitcnt lgkmcnt(0)
	s_barrier
	buffer_gl0_inv
	s_and_saveexec_b32 s4, vcc_lo
	s_cbranch_execz .LBB7_18
; %bb.17:
	v_mov_b32_e32 v2, 0
	s_cmp_eq_u64 s[2:3], 0
	s_cselect_b32 s1, s1, s3
	s_cselect_b32 s0, s0, s2
	ds_read_b64 v[0:1], v2
	s_waitcnt lgkmcnt(0)
	global_store_dwordx2 v2, v[0:1], s[0:1]
.LBB7_18:
	s_endpgm
	.section	.rodata,"a",@progbits
	.p2align	6, 0x0
	.amdhsa_kernel _ZN9rocsparseL17doti_kernel_part2ILj256E21rocsparse_complex_numIfEEEvPT0_S4_
		.amdhsa_group_segment_fixed_size 2048
		.amdhsa_private_segment_fixed_size 0
		.amdhsa_kernarg_size 16
		.amdhsa_user_sgpr_count 6
		.amdhsa_user_sgpr_private_segment_buffer 1
		.amdhsa_user_sgpr_dispatch_ptr 0
		.amdhsa_user_sgpr_queue_ptr 0
		.amdhsa_user_sgpr_kernarg_segment_ptr 1
		.amdhsa_user_sgpr_dispatch_id 0
		.amdhsa_user_sgpr_flat_scratch_init 0
		.amdhsa_user_sgpr_private_segment_size 0
		.amdhsa_wavefront_size32 1
		.amdhsa_uses_dynamic_stack 0
		.amdhsa_system_sgpr_private_segment_wavefront_offset 0
		.amdhsa_system_sgpr_workgroup_id_x 1
		.amdhsa_system_sgpr_workgroup_id_y 0
		.amdhsa_system_sgpr_workgroup_id_z 0
		.amdhsa_system_sgpr_workgroup_info 0
		.amdhsa_system_vgpr_workitem_id 0
		.amdhsa_next_free_vgpr 6
		.amdhsa_next_free_sgpr 6
		.amdhsa_reserve_vcc 1
		.amdhsa_reserve_flat_scratch 0
		.amdhsa_float_round_mode_32 0
		.amdhsa_float_round_mode_16_64 0
		.amdhsa_float_denorm_mode_32 3
		.amdhsa_float_denorm_mode_16_64 3
		.amdhsa_dx10_clamp 1
		.amdhsa_ieee_mode 1
		.amdhsa_fp16_overflow 0
		.amdhsa_workgroup_processor_mode 1
		.amdhsa_memory_ordered 1
		.amdhsa_forward_progress 1
		.amdhsa_shared_vgpr_count 0
		.amdhsa_exception_fp_ieee_invalid_op 0
		.amdhsa_exception_fp_denorm_src 0
		.amdhsa_exception_fp_ieee_div_zero 0
		.amdhsa_exception_fp_ieee_overflow 0
		.amdhsa_exception_fp_ieee_underflow 0
		.amdhsa_exception_fp_ieee_inexact 0
		.amdhsa_exception_int_div_zero 0
	.end_amdhsa_kernel
	.section	.text._ZN9rocsparseL17doti_kernel_part2ILj256E21rocsparse_complex_numIfEEEvPT0_S4_,"axG",@progbits,_ZN9rocsparseL17doti_kernel_part2ILj256E21rocsparse_complex_numIfEEEvPT0_S4_,comdat
.Lfunc_end7:
	.size	_ZN9rocsparseL17doti_kernel_part2ILj256E21rocsparse_complex_numIfEEEvPT0_S4_, .Lfunc_end7-_ZN9rocsparseL17doti_kernel_part2ILj256E21rocsparse_complex_numIfEEEvPT0_S4_
                                        ; -- End function
	.set _ZN9rocsparseL17doti_kernel_part2ILj256E21rocsparse_complex_numIfEEEvPT0_S4_.num_vgpr, 6
	.set _ZN9rocsparseL17doti_kernel_part2ILj256E21rocsparse_complex_numIfEEEvPT0_S4_.num_agpr, 0
	.set _ZN9rocsparseL17doti_kernel_part2ILj256E21rocsparse_complex_numIfEEEvPT0_S4_.numbered_sgpr, 6
	.set _ZN9rocsparseL17doti_kernel_part2ILj256E21rocsparse_complex_numIfEEEvPT0_S4_.num_named_barrier, 0
	.set _ZN9rocsparseL17doti_kernel_part2ILj256E21rocsparse_complex_numIfEEEvPT0_S4_.private_seg_size, 0
	.set _ZN9rocsparseL17doti_kernel_part2ILj256E21rocsparse_complex_numIfEEEvPT0_S4_.uses_vcc, 1
	.set _ZN9rocsparseL17doti_kernel_part2ILj256E21rocsparse_complex_numIfEEEvPT0_S4_.uses_flat_scratch, 0
	.set _ZN9rocsparseL17doti_kernel_part2ILj256E21rocsparse_complex_numIfEEEvPT0_S4_.has_dyn_sized_stack, 0
	.set _ZN9rocsparseL17doti_kernel_part2ILj256E21rocsparse_complex_numIfEEEvPT0_S4_.has_recursion, 0
	.set _ZN9rocsparseL17doti_kernel_part2ILj256E21rocsparse_complex_numIfEEEvPT0_S4_.has_indirect_call, 0
	.section	.AMDGPU.csdata,"",@progbits
; Kernel info:
; codeLenInByte = 588
; TotalNumSgprs: 8
; NumVgprs: 6
; ScratchSize: 0
; MemoryBound: 0
; FloatMode: 240
; IeeeMode: 1
; LDSByteSize: 2048 bytes/workgroup (compile time only)
; SGPRBlocks: 0
; VGPRBlocks: 0
; NumSGPRsForWavesPerEU: 8
; NumVGPRsForWavesPerEU: 6
; Occupancy: 16
; WaveLimiterHint : 0
; COMPUTE_PGM_RSRC2:SCRATCH_EN: 0
; COMPUTE_PGM_RSRC2:USER_SGPR: 6
; COMPUTE_PGM_RSRC2:TRAP_HANDLER: 0
; COMPUTE_PGM_RSRC2:TGID_X_EN: 1
; COMPUTE_PGM_RSRC2:TGID_Y_EN: 0
; COMPUTE_PGM_RSRC2:TGID_Z_EN: 0
; COMPUTE_PGM_RSRC2:TIDIG_COMP_CNT: 0
	.section	.text._ZN9rocsparseL17doti_kernel_part1ILj256ELj2El21rocsparse_complex_numIfES2_S2_EEvT1_PKT2_PKS3_PKT3_PT4_21rocsparse_index_base_,"axG",@progbits,_ZN9rocsparseL17doti_kernel_part1ILj256ELj2El21rocsparse_complex_numIfES2_S2_EEvT1_PKT2_PKS3_PKT3_PT4_21rocsparse_index_base_,comdat
	.globl	_ZN9rocsparseL17doti_kernel_part1ILj256ELj2El21rocsparse_complex_numIfES2_S2_EEvT1_PKT2_PKS3_PKT3_PT4_21rocsparse_index_base_ ; -- Begin function _ZN9rocsparseL17doti_kernel_part1ILj256ELj2El21rocsparse_complex_numIfES2_S2_EEvT1_PKT2_PKS3_PKT3_PT4_21rocsparse_index_base_
	.p2align	8
	.type	_ZN9rocsparseL17doti_kernel_part1ILj256ELj2El21rocsparse_complex_numIfES2_S2_EEvT1_PKT2_PKS3_PKT3_PT4_21rocsparse_index_base_,@function
_ZN9rocsparseL17doti_kernel_part1ILj256ELj2El21rocsparse_complex_numIfES2_S2_EEvT1_PKT2_PKS3_PKT3_PT4_21rocsparse_index_base_: ; @_ZN9rocsparseL17doti_kernel_part1ILj256ELj2El21rocsparse_complex_numIfES2_S2_EEvT1_PKT2_PKS3_PKT3_PT4_21rocsparse_index_base_
; %bb.0:
	s_clause 0x3
	s_load_dword s7, s[4:5], 0x30
	s_load_dwordx8 s[8:15], s[4:5], 0x0
	s_load_dwordx2 s[2:3], s[4:5], 0x20
	s_load_dword s1, s[4:5], 0x28
	s_mov_b32 s5, 0
	s_lshl_b32 s0, s6, 8
	v_mov_b32_e32 v1, 0
	v_or_b32_e32 v5, s0, v0
	s_waitcnt lgkmcnt(0)
	s_lshl_b32 s4, s7, 9
	v_cmp_le_i64_e64 s16, s[8:9], s[4:5]
	s_and_b32 vcc_lo, exec_lo, s16
	s_cbranch_vccnz .LBB8_3
; %bb.1:
	v_add_nc_u32_e32 v1, s0, v5
	v_mov_b32_e32 v2, 0
	s_lshl_b64 s[18:19], s[4:5], 3
	s_mov_b64 s[20:21], s[12:13]
	s_mov_b64 s[22:23], s[10:11]
	;; [unrolled: 1-line block ×3, first 2 shown]
	v_lshlrev_b64 v[3:4], 3, v[1:2]
	v_mov_b32_e32 v1, v2
.LBB8_2:                                ; =>This Inner Loop Header: Depth=1
	v_add_co_u32 v6, vcc_lo, s20, v3
	v_add_co_ci_u32_e64 v7, null, s21, v4, vcc_lo
	s_add_u32 s16, s16, s4
	s_addc_u32 s17, s17, 0
	global_load_dwordx2 v[8:9], v[6:7], off
	v_add_co_u32 v6, vcc_lo, 0x800, v6
	v_add_co_ci_u32_e64 v7, null, 0, v7, vcc_lo
	v_add_co_u32 v10, vcc_lo, s22, v3
	v_add_co_ci_u32_e64 v11, null, s23, v4, vcc_lo
	global_load_dwordx2 v[6:7], v[6:7], off
	s_add_u32 s22, s22, s18
	s_addc_u32 s23, s23, s19
	global_load_dwordx2 v[12:13], v[10:11], off
	v_add_co_u32 v10, vcc_lo, 0x800, v10
	v_add_co_ci_u32_e64 v11, null, 0, v11, vcc_lo
	s_add_u32 s20, s20, s18
	s_addc_u32 s21, s21, s19
	s_waitcnt vmcnt(2)
	v_sub_co_u32 v8, s0, v8, s1
	v_subrev_co_ci_u32_e64 v9, null, 0, v9, s0
	v_cmp_lt_i64_e64 s0, s[16:17], s[8:9]
	v_lshlrev_b64 v[8:9], 3, v[8:9]
	s_waitcnt vmcnt(1)
	v_sub_co_u32 v6, vcc_lo, v6, s1
	v_subrev_co_ci_u32_e64 v7, null, 0, v7, vcc_lo
	v_add_co_u32 v8, vcc_lo, s14, v8
	v_add_co_ci_u32_e64 v9, null, s15, v9, vcc_lo
	v_lshlrev_b64 v[6:7], 3, v[6:7]
	global_load_dwordx2 v[8:9], v[8:9], off
	v_add_co_u32 v6, vcc_lo, s14, v6
	v_add_co_ci_u32_e64 v7, null, s15, v7, vcc_lo
	global_load_dwordx2 v[10:11], v[10:11], off
	global_load_dwordx2 v[6:7], v[6:7], off
	s_and_b32 vcc_lo, exec_lo, s0
	s_waitcnt vmcnt(2)
	v_fmac_f32_e32 v1, v8, v12
	v_fmac_f32_e32 v2, v9, v12
	v_fma_f32 v1, -v9, v13, v1
	v_fmac_f32_e32 v2, v8, v13
	s_waitcnt vmcnt(0)
	v_fmac_f32_e32 v1, v6, v10
	v_fmac_f32_e32 v2, v7, v10
	v_fma_f32 v1, -v7, v11, v1
	v_fmac_f32_e32 v2, v6, v11
	s_cbranch_vccnz .LBB8_2
	s_branch .LBB8_4
.LBB8_3:
	v_mov_b32_e32 v2, 0
	s_mov_b64 s[16:17], s[4:5]
.LBB8_4:
	v_sub_co_u32 v3, s0, v5, s4
	v_sub_co_ci_u32_e64 v4, null, 0, 0, s0
	s_mov_b32 s18, exec_lo
	v_add_co_u32 v3, vcc_lo, v3, s16
	v_add_co_ci_u32_e64 v4, null, s17, v4, vcc_lo
	v_cmpx_gt_i64_e64 s[8:9], v[3:4]
	s_cbranch_execz .LBB8_8
; %bb.5:
	s_mov_b32 s5, 0
	s_lshl_b32 s4, s7, 8
	v_lshlrev_b64 v[5:6], 3, v[3:4]
	s_lshl_b64 s[16:17], s[4:5], 3
	s_add_u32 s7, s10, 4
	s_addc_u32 s10, s11, 0
	s_inst_prefetch 0x1
	.p2align	6
.LBB8_6:                                ; =>This Inner Loop Header: Depth=1
	v_add_co_u32 v7, vcc_lo, s12, v5
	v_add_co_ci_u32_e64 v8, null, s13, v6, vcc_lo
	global_load_dwordx2 v[7:8], v[7:8], off
	s_waitcnt vmcnt(0)
	v_sub_co_u32 v7, vcc_lo, v7, s1
	v_subrev_co_ci_u32_e64 v8, null, 0, v8, vcc_lo
	v_add_co_u32 v9, vcc_lo, s7, v5
	v_add_co_ci_u32_e64 v10, null, s10, v6, vcc_lo
	v_lshlrev_b64 v[7:8], 3, v[7:8]
	v_add_co_u32 v7, vcc_lo, s14, v7
	v_add_co_ci_u32_e64 v8, null, s15, v8, vcc_lo
	v_add_co_u32 v3, vcc_lo, v3, s4
	global_load_dwordx2 v[9:10], v[9:10], off offset:-4
	global_load_dwordx2 v[7:8], v[7:8], off
	v_add_co_ci_u32_e64 v4, null, 0, v4, vcc_lo
	v_add_co_u32 v5, vcc_lo, v5, s16
	v_add_co_ci_u32_e64 v6, null, s17, v6, vcc_lo
	v_cmp_le_i64_e64 s0, s[8:9], v[3:4]
	s_or_b32 s5, s0, s5
	s_waitcnt vmcnt(0)
	v_fmac_f32_e32 v1, v7, v9
	v_fmac_f32_e32 v2, v8, v9
	v_fma_f32 v1, -v8, v10, v1
	v_fmac_f32_e32 v2, v7, v10
	s_andn2_b32 exec_lo, exec_lo, s5
	s_cbranch_execnz .LBB8_6
; %bb.7:
	s_inst_prefetch 0x2
	s_or_b32 exec_lo, exec_lo, s5
.LBB8_8:
	s_or_b32 exec_lo, exec_lo, s18
	v_lshlrev_b32_e32 v3, 3, v0
	s_mov_b32 s0, exec_lo
	ds_write_b64 v3, v[1:2]
	s_waitcnt lgkmcnt(0)
	s_barrier
	buffer_gl0_inv
	v_cmpx_gt_u32_e32 0x80, v0
	s_cbranch_execz .LBB8_10
; %bb.9:
	ds_read2st64_b64 v[4:7], v3 offset1:2
	s_waitcnt lgkmcnt(0)
	v_add_f32_e32 v1, v6, v4
	v_add_f32_e32 v2, v7, v5
	ds_write_b64 v3, v[1:2]
.LBB8_10:
	s_or_b32 exec_lo, exec_lo, s0
	s_mov_b32 s0, exec_lo
	s_waitcnt lgkmcnt(0)
	s_barrier
	buffer_gl0_inv
	v_cmpx_gt_u32_e32 64, v0
	s_cbranch_execz .LBB8_12
; %bb.11:
	ds_read2st64_b64 v[4:7], v3 offset1:1
	s_waitcnt lgkmcnt(0)
	v_add_f32_e32 v1, v6, v4
	v_add_f32_e32 v2, v7, v5
	ds_write_b64 v3, v[1:2]
.LBB8_12:
	s_or_b32 exec_lo, exec_lo, s0
	s_mov_b32 s0, exec_lo
	s_waitcnt lgkmcnt(0)
	s_barrier
	buffer_gl0_inv
	v_cmpx_gt_u32_e32 32, v0
	s_cbranch_execz .LBB8_14
; %bb.13:
	ds_read2_b64 v[4:7], v3 offset1:32
	s_waitcnt lgkmcnt(0)
	v_add_f32_e32 v1, v6, v4
	v_add_f32_e32 v2, v7, v5
	ds_write_b64 v3, v[1:2]
.LBB8_14:
	s_or_b32 exec_lo, exec_lo, s0
	s_mov_b32 s0, exec_lo
	s_waitcnt lgkmcnt(0)
	s_barrier
	buffer_gl0_inv
	v_cmpx_gt_u32_e32 16, v0
	s_cbranch_execz .LBB8_16
; %bb.15:
	ds_read2_b64 v[4:7], v3 offset1:16
	s_waitcnt lgkmcnt(0)
	v_add_f32_e32 v1, v6, v4
	v_add_f32_e32 v2, v7, v5
	ds_write_b64 v3, v[1:2]
.LBB8_16:
	;; [unrolled: 14-line block ×5, first 2 shown]
	s_or_b32 exec_lo, exec_lo, s0
	v_cmp_eq_u32_e32 vcc_lo, 0, v0
	s_waitcnt lgkmcnt(0)
	s_barrier
	buffer_gl0_inv
	s_and_saveexec_b32 s0, vcc_lo
	s_cbranch_execz .LBB8_24
; %bb.23:
	v_mov_b32_e32 v4, 0
	ds_read2_b64 v[0:3], v4 offset1:1
	s_waitcnt lgkmcnt(0)
	v_add_f32_e32 v0, v2, v0
	v_add_f32_e32 v1, v3, v1
	ds_write_b64 v4, v[0:1]
.LBB8_24:
	s_or_b32 exec_lo, exec_lo, s0
	s_waitcnt lgkmcnt(0)
	s_barrier
	buffer_gl0_inv
	s_and_saveexec_b32 s0, vcc_lo
	s_cbranch_execz .LBB8_26
; %bb.25:
	v_mov_b32_e32 v2, 0
	s_mov_b32 s7, 0
	s_lshl_b64 s[0:1], s[6:7], 3
	s_add_u32 s0, s2, s0
	ds_read_b64 v[0:1], v2
	s_addc_u32 s1, s3, s1
	s_waitcnt lgkmcnt(0)
	global_store_dwordx2 v2, v[0:1], s[0:1]
.LBB8_26:
	s_endpgm
	.section	.rodata,"a",@progbits
	.p2align	6, 0x0
	.amdhsa_kernel _ZN9rocsparseL17doti_kernel_part1ILj256ELj2El21rocsparse_complex_numIfES2_S2_EEvT1_PKT2_PKS3_PKT3_PT4_21rocsparse_index_base_
		.amdhsa_group_segment_fixed_size 2048
		.amdhsa_private_segment_fixed_size 0
		.amdhsa_kernarg_size 304
		.amdhsa_user_sgpr_count 6
		.amdhsa_user_sgpr_private_segment_buffer 1
		.amdhsa_user_sgpr_dispatch_ptr 0
		.amdhsa_user_sgpr_queue_ptr 0
		.amdhsa_user_sgpr_kernarg_segment_ptr 1
		.amdhsa_user_sgpr_dispatch_id 0
		.amdhsa_user_sgpr_flat_scratch_init 0
		.amdhsa_user_sgpr_private_segment_size 0
		.amdhsa_wavefront_size32 1
		.amdhsa_uses_dynamic_stack 0
		.amdhsa_system_sgpr_private_segment_wavefront_offset 0
		.amdhsa_system_sgpr_workgroup_id_x 1
		.amdhsa_system_sgpr_workgroup_id_y 0
		.amdhsa_system_sgpr_workgroup_id_z 0
		.amdhsa_system_sgpr_workgroup_info 0
		.amdhsa_system_vgpr_workitem_id 0
		.amdhsa_next_free_vgpr 14
		.amdhsa_next_free_sgpr 24
		.amdhsa_reserve_vcc 1
		.amdhsa_reserve_flat_scratch 0
		.amdhsa_float_round_mode_32 0
		.amdhsa_float_round_mode_16_64 0
		.amdhsa_float_denorm_mode_32 3
		.amdhsa_float_denorm_mode_16_64 3
		.amdhsa_dx10_clamp 1
		.amdhsa_ieee_mode 1
		.amdhsa_fp16_overflow 0
		.amdhsa_workgroup_processor_mode 1
		.amdhsa_memory_ordered 1
		.amdhsa_forward_progress 1
		.amdhsa_shared_vgpr_count 0
		.amdhsa_exception_fp_ieee_invalid_op 0
		.amdhsa_exception_fp_denorm_src 0
		.amdhsa_exception_fp_ieee_div_zero 0
		.amdhsa_exception_fp_ieee_overflow 0
		.amdhsa_exception_fp_ieee_underflow 0
		.amdhsa_exception_fp_ieee_inexact 0
		.amdhsa_exception_int_div_zero 0
	.end_amdhsa_kernel
	.section	.text._ZN9rocsparseL17doti_kernel_part1ILj256ELj2El21rocsparse_complex_numIfES2_S2_EEvT1_PKT2_PKS3_PKT3_PT4_21rocsparse_index_base_,"axG",@progbits,_ZN9rocsparseL17doti_kernel_part1ILj256ELj2El21rocsparse_complex_numIfES2_S2_EEvT1_PKT2_PKS3_PKT3_PT4_21rocsparse_index_base_,comdat
.Lfunc_end8:
	.size	_ZN9rocsparseL17doti_kernel_part1ILj256ELj2El21rocsparse_complex_numIfES2_S2_EEvT1_PKT2_PKS3_PKT3_PT4_21rocsparse_index_base_, .Lfunc_end8-_ZN9rocsparseL17doti_kernel_part1ILj256ELj2El21rocsparse_complex_numIfES2_S2_EEvT1_PKT2_PKS3_PKT3_PT4_21rocsparse_index_base_
                                        ; -- End function
	.set _ZN9rocsparseL17doti_kernel_part1ILj256ELj2El21rocsparse_complex_numIfES2_S2_EEvT1_PKT2_PKS3_PKT3_PT4_21rocsparse_index_base_.num_vgpr, 14
	.set _ZN9rocsparseL17doti_kernel_part1ILj256ELj2El21rocsparse_complex_numIfES2_S2_EEvT1_PKT2_PKS3_PKT3_PT4_21rocsparse_index_base_.num_agpr, 0
	.set _ZN9rocsparseL17doti_kernel_part1ILj256ELj2El21rocsparse_complex_numIfES2_S2_EEvT1_PKT2_PKS3_PKT3_PT4_21rocsparse_index_base_.numbered_sgpr, 24
	.set _ZN9rocsparseL17doti_kernel_part1ILj256ELj2El21rocsparse_complex_numIfES2_S2_EEvT1_PKT2_PKS3_PKT3_PT4_21rocsparse_index_base_.num_named_barrier, 0
	.set _ZN9rocsparseL17doti_kernel_part1ILj256ELj2El21rocsparse_complex_numIfES2_S2_EEvT1_PKT2_PKS3_PKT3_PT4_21rocsparse_index_base_.private_seg_size, 0
	.set _ZN9rocsparseL17doti_kernel_part1ILj256ELj2El21rocsparse_complex_numIfES2_S2_EEvT1_PKT2_PKS3_PKT3_PT4_21rocsparse_index_base_.uses_vcc, 1
	.set _ZN9rocsparseL17doti_kernel_part1ILj256ELj2El21rocsparse_complex_numIfES2_S2_EEvT1_PKT2_PKS3_PKT3_PT4_21rocsparse_index_base_.uses_flat_scratch, 0
	.set _ZN9rocsparseL17doti_kernel_part1ILj256ELj2El21rocsparse_complex_numIfES2_S2_EEvT1_PKT2_PKS3_PKT3_PT4_21rocsparse_index_base_.has_dyn_sized_stack, 0
	.set _ZN9rocsparseL17doti_kernel_part1ILj256ELj2El21rocsparse_complex_numIfES2_S2_EEvT1_PKT2_PKS3_PKT3_PT4_21rocsparse_index_base_.has_recursion, 0
	.set _ZN9rocsparseL17doti_kernel_part1ILj256ELj2El21rocsparse_complex_numIfES2_S2_EEvT1_PKT2_PKS3_PKT3_PT4_21rocsparse_index_base_.has_indirect_call, 0
	.section	.AMDGPU.csdata,"",@progbits
; Kernel info:
; codeLenInByte = 1268
; TotalNumSgprs: 26
; NumVgprs: 14
; ScratchSize: 0
; MemoryBound: 0
; FloatMode: 240
; IeeeMode: 1
; LDSByteSize: 2048 bytes/workgroup (compile time only)
; SGPRBlocks: 0
; VGPRBlocks: 1
; NumSGPRsForWavesPerEU: 26
; NumVGPRsForWavesPerEU: 14
; Occupancy: 16
; WaveLimiterHint : 1
; COMPUTE_PGM_RSRC2:SCRATCH_EN: 0
; COMPUTE_PGM_RSRC2:USER_SGPR: 6
; COMPUTE_PGM_RSRC2:TRAP_HANDLER: 0
; COMPUTE_PGM_RSRC2:TGID_X_EN: 1
; COMPUTE_PGM_RSRC2:TGID_Y_EN: 0
; COMPUTE_PGM_RSRC2:TGID_Z_EN: 0
; COMPUTE_PGM_RSRC2:TIDIG_COMP_CNT: 0
	.section	.text._ZN9rocsparseL17doti_kernel_part1ILj256ELj2Ei21rocsparse_complex_numIdES2_S2_EEvT1_PKT2_PKS3_PKT3_PT4_21rocsparse_index_base_,"axG",@progbits,_ZN9rocsparseL17doti_kernel_part1ILj256ELj2Ei21rocsparse_complex_numIdES2_S2_EEvT1_PKT2_PKS3_PKT3_PT4_21rocsparse_index_base_,comdat
	.globl	_ZN9rocsparseL17doti_kernel_part1ILj256ELj2Ei21rocsparse_complex_numIdES2_S2_EEvT1_PKT2_PKS3_PKT3_PT4_21rocsparse_index_base_ ; -- Begin function _ZN9rocsparseL17doti_kernel_part1ILj256ELj2Ei21rocsparse_complex_numIdES2_S2_EEvT1_PKT2_PKS3_PKT3_PT4_21rocsparse_index_base_
	.p2align	8
	.type	_ZN9rocsparseL17doti_kernel_part1ILj256ELj2Ei21rocsparse_complex_numIdES2_S2_EEvT1_PKT2_PKS3_PKT3_PT4_21rocsparse_index_base_,@function
_ZN9rocsparseL17doti_kernel_part1ILj256ELj2Ei21rocsparse_complex_numIdES2_S2_EEvT1_PKT2_PKS3_PKT3_PT4_21rocsparse_index_base_: ; @_ZN9rocsparseL17doti_kernel_part1ILj256ELj2Ei21rocsparse_complex_numIdES2_S2_EEvT1_PKT2_PKS3_PKT3_PT4_21rocsparse_index_base_
; %bb.0:
	s_clause 0x3
	s_load_dword s2, s[4:5], 0x30
	s_load_dword s0, s[4:5], 0x0
	;; [unrolled: 1-line block ×3, first 2 shown]
	s_load_dwordx8 s[8:15], s[4:5], 0x8
	v_mov_b32_e32 v1, 0
	v_mov_b32_e32 v2, 0
	;; [unrolled: 1-line block ×4, first 2 shown]
	s_waitcnt lgkmcnt(0)
	s_lshl_b32 s3, s2, 9
	s_cmp_ge_i32 s3, s0
	s_mov_b32 s5, s3
	s_cbranch_scc1 .LBB9_3
; %bb.1:
	v_mov_b32_e32 v1, 0
	v_mov_b32_e32 v2, 0
	v_lshl_or_b32 v7, s6, 9, v0
	v_mov_b32_e32 v6, 0
	s_mov_b32 s4, 0
	v_mov_b32_e32 v4, v2
	v_mov_b32_e32 v3, v1
.LBB9_2:                                ; =>This Inner Loop Header: Depth=1
	v_add_nc_u32_e32 v5, s4, v7
	s_add_i32 s4, s4, s3
	s_add_i32 s5, s3, s4
	s_cmp_lt_i32 s5, s0
	v_lshlrev_b64 v[8:9], 2, v[5:6]
	v_add_co_u32 v8, vcc_lo, s10, v8
	v_add_co_ci_u32_e64 v9, null, s11, v9, vcc_lo
	global_load_dword v12, v[8:9], off
	v_lshlrev_b64 v[8:9], 4, v[5:6]
	v_add_nc_u32_e32 v5, 0x100, v5
	v_lshlrev_b64 v[10:11], 2, v[5:6]
	v_lshlrev_b64 v[18:19], 4, v[5:6]
	v_add_co_u32 v10, vcc_lo, s10, v10
	v_add_co_ci_u32_e64 v11, null, s11, v11, vcc_lo
	v_add_co_u32 v8, vcc_lo, s8, v8
	v_add_co_ci_u32_e64 v9, null, s9, v9, vcc_lo
	global_load_dword v16, v[10:11], off
	s_waitcnt vmcnt(1)
	v_subrev_nc_u32_e32 v10, s1, v12
	v_ashrrev_i32_e32 v11, 31, v10
	v_lshlrev_b64 v[10:11], 4, v[10:11]
	v_add_co_u32 v12, vcc_lo, s12, v10
	v_add_co_ci_u32_e64 v13, null, s13, v11, vcc_lo
	v_add_co_u32 v18, vcc_lo, s8, v18
	global_load_dwordx4 v[8:11], v[8:9], off
	global_load_dwordx4 v[12:15], v[12:13], off
	s_waitcnt vmcnt(2)
	v_subrev_nc_u32_e32 v16, s1, v16
	v_add_co_ci_u32_e64 v19, null, s9, v19, vcc_lo
	v_ashrrev_i32_e32 v17, 31, v16
	v_lshlrev_b64 v[16:17], 4, v[16:17]
	v_add_co_u32 v20, vcc_lo, s12, v16
	v_add_co_ci_u32_e64 v21, null, s13, v17, vcc_lo
	global_load_dwordx4 v[16:19], v[18:19], off
	global_load_dwordx4 v[20:23], v[20:21], off
	s_waitcnt vmcnt(2)
	v_fma_f64 v[1:2], v[12:13], v[8:9], v[1:2]
	v_fma_f64 v[3:4], v[14:15], v[8:9], v[3:4]
	v_fma_f64 v[1:2], -v[14:15], v[10:11], v[1:2]
	v_fma_f64 v[3:4], v[12:13], v[10:11], v[3:4]
	s_waitcnt vmcnt(0)
	v_fma_f64 v[1:2], v[20:21], v[16:17], v[1:2]
	v_fma_f64 v[3:4], v[22:23], v[16:17], v[3:4]
	v_fma_f64 v[1:2], -v[22:23], v[18:19], v[1:2]
	v_fma_f64 v[3:4], v[20:21], v[18:19], v[3:4]
	s_cbranch_scc1 .LBB9_2
.LBB9_3:
	v_lshl_or_b32 v5, s6, 8, v0
	v_subrev_nc_u32_e32 v5, s3, v5
	s_mov_b32 s3, exec_lo
	v_add_nc_u32_e32 v5, s5, v5
	v_cmpx_gt_i32_e64 s0, v5
	s_cbranch_execz .LBB9_7
; %bb.4:
	s_lshl_b32 s4, s2, 8
	s_mov_b32 s2, 0
	s_inst_prefetch 0x1
	.p2align	6
.LBB9_5:                                ; =>This Inner Loop Header: Depth=1
	v_ashrrev_i32_e32 v6, 31, v5
	v_lshlrev_b64 v[7:8], 2, v[5:6]
	v_lshlrev_b64 v[9:10], 4, v[5:6]
	v_add_nc_u32_e32 v5, s4, v5
	v_add_co_u32 v7, vcc_lo, s10, v7
	v_add_co_ci_u32_e64 v8, null, s11, v8, vcc_lo
	v_add_co_u32 v6, vcc_lo, s8, v9
	global_load_dword v7, v[7:8], off
	s_waitcnt vmcnt(0)
	v_subrev_nc_u32_e32 v7, s1, v7
	v_ashrrev_i32_e32 v8, 31, v7
	v_lshlrev_b64 v[8:9], 4, v[7:8]
	v_add_co_ci_u32_e64 v7, null, s9, v10, vcc_lo
	v_add_co_u32 v10, vcc_lo, s12, v8
	v_add_co_ci_u32_e64 v11, null, s13, v9, vcc_lo
	v_cmp_le_i32_e32 vcc_lo, s0, v5
	global_load_dwordx4 v[6:9], v[6:7], off
	global_load_dwordx4 v[10:13], v[10:11], off
	s_or_b32 s2, vcc_lo, s2
	s_waitcnt vmcnt(0)
	v_fma_f64 v[1:2], v[10:11], v[6:7], v[1:2]
	v_fma_f64 v[3:4], v[12:13], v[6:7], v[3:4]
	v_fma_f64 v[1:2], -v[12:13], v[8:9], v[1:2]
	v_fma_f64 v[3:4], v[10:11], v[8:9], v[3:4]
	s_andn2_b32 exec_lo, exec_lo, s2
	s_cbranch_execnz .LBB9_5
; %bb.6:
	s_inst_prefetch 0x2
	s_or_b32 exec_lo, exec_lo, s2
.LBB9_7:
	s_or_b32 exec_lo, exec_lo, s3
	v_lshlrev_b32_e32 v5, 4, v0
	s_mov_b32 s0, exec_lo
	ds_write_b128 v5, v[1:4]
	s_waitcnt lgkmcnt(0)
	s_barrier
	buffer_gl0_inv
	v_cmpx_gt_u32_e32 0x80, v0
	s_cbranch_execz .LBB9_9
; %bb.8:
	ds_read_b128 v[1:4], v5 offset:2048
	ds_read_b128 v[6:9], v5
	s_waitcnt lgkmcnt(0)
	v_add_f64 v[1:2], v[1:2], v[6:7]
	v_add_f64 v[3:4], v[3:4], v[8:9]
	ds_write_b128 v5, v[1:4]
.LBB9_9:
	s_or_b32 exec_lo, exec_lo, s0
	s_mov_b32 s0, exec_lo
	s_waitcnt lgkmcnt(0)
	s_barrier
	buffer_gl0_inv
	v_cmpx_gt_u32_e32 64, v0
	s_cbranch_execz .LBB9_11
; %bb.10:
	ds_read_b128 v[1:4], v5 offset:1024
	ds_read_b128 v[6:9], v5
	s_waitcnt lgkmcnt(0)
	v_add_f64 v[1:2], v[1:2], v[6:7]
	v_add_f64 v[3:4], v[3:4], v[8:9]
	ds_write_b128 v5, v[1:4]
.LBB9_11:
	s_or_b32 exec_lo, exec_lo, s0
	s_mov_b32 s0, exec_lo
	;; [unrolled: 15-line block ×6, first 2 shown]
	s_waitcnt lgkmcnt(0)
	s_barrier
	buffer_gl0_inv
	v_cmpx_gt_u32_e32 2, v0
	s_cbranch_execz .LBB9_21
; %bb.20:
	ds_read_b128 v[1:4], v5
	ds_read_b128 v[6:9], v5 offset:32
	s_waitcnt lgkmcnt(0)
	v_add_f64 v[1:2], v[6:7], v[1:2]
	v_add_f64 v[3:4], v[8:9], v[3:4]
	ds_write_b128 v5, v[1:4]
.LBB9_21:
	s_or_b32 exec_lo, exec_lo, s0
	v_cmp_eq_u32_e32 vcc_lo, 0, v0
	s_waitcnt lgkmcnt(0)
	s_barrier
	buffer_gl0_inv
	s_and_saveexec_b32 s0, vcc_lo
	s_cbranch_execz .LBB9_23
; %bb.22:
	v_mov_b32_e32 v8, 0
	ds_read_b128 v[0:3], v8
	ds_read_b128 v[4:7], v8 offset:16
	s_waitcnt lgkmcnt(0)
	v_add_f64 v[0:1], v[4:5], v[0:1]
	v_add_f64 v[2:3], v[6:7], v[2:3]
	ds_write_b128 v8, v[0:3]
.LBB9_23:
	s_or_b32 exec_lo, exec_lo, s0
	s_waitcnt lgkmcnt(0)
	s_barrier
	buffer_gl0_inv
	s_and_saveexec_b32 s0, vcc_lo
	s_cbranch_execz .LBB9_25
; %bb.24:
	v_mov_b32_e32 v4, 0
	s_mov_b32 s7, 0
	s_lshl_b64 s[0:1], s[6:7], 4
	s_add_u32 s0, s14, s0
	ds_read_b128 v[0:3], v4
	s_addc_u32 s1, s15, s1
	s_waitcnt lgkmcnt(0)
	global_store_dwordx4 v4, v[0:3], s[0:1]
.LBB9_25:
	s_endpgm
	.section	.rodata,"a",@progbits
	.p2align	6, 0x0
	.amdhsa_kernel _ZN9rocsparseL17doti_kernel_part1ILj256ELj2Ei21rocsparse_complex_numIdES2_S2_EEvT1_PKT2_PKS3_PKT3_PT4_21rocsparse_index_base_
		.amdhsa_group_segment_fixed_size 4096
		.amdhsa_private_segment_fixed_size 0
		.amdhsa_kernarg_size 304
		.amdhsa_user_sgpr_count 6
		.amdhsa_user_sgpr_private_segment_buffer 1
		.amdhsa_user_sgpr_dispatch_ptr 0
		.amdhsa_user_sgpr_queue_ptr 0
		.amdhsa_user_sgpr_kernarg_segment_ptr 1
		.amdhsa_user_sgpr_dispatch_id 0
		.amdhsa_user_sgpr_flat_scratch_init 0
		.amdhsa_user_sgpr_private_segment_size 0
		.amdhsa_wavefront_size32 1
		.amdhsa_uses_dynamic_stack 0
		.amdhsa_system_sgpr_private_segment_wavefront_offset 0
		.amdhsa_system_sgpr_workgroup_id_x 1
		.amdhsa_system_sgpr_workgroup_id_y 0
		.amdhsa_system_sgpr_workgroup_id_z 0
		.amdhsa_system_sgpr_workgroup_info 0
		.amdhsa_system_vgpr_workitem_id 0
		.amdhsa_next_free_vgpr 24
		.amdhsa_next_free_sgpr 16
		.amdhsa_reserve_vcc 1
		.amdhsa_reserve_flat_scratch 0
		.amdhsa_float_round_mode_32 0
		.amdhsa_float_round_mode_16_64 0
		.amdhsa_float_denorm_mode_32 3
		.amdhsa_float_denorm_mode_16_64 3
		.amdhsa_dx10_clamp 1
		.amdhsa_ieee_mode 1
		.amdhsa_fp16_overflow 0
		.amdhsa_workgroup_processor_mode 1
		.amdhsa_memory_ordered 1
		.amdhsa_forward_progress 1
		.amdhsa_shared_vgpr_count 0
		.amdhsa_exception_fp_ieee_invalid_op 0
		.amdhsa_exception_fp_denorm_src 0
		.amdhsa_exception_fp_ieee_div_zero 0
		.amdhsa_exception_fp_ieee_overflow 0
		.amdhsa_exception_fp_ieee_underflow 0
		.amdhsa_exception_fp_ieee_inexact 0
		.amdhsa_exception_int_div_zero 0
	.end_amdhsa_kernel
	.section	.text._ZN9rocsparseL17doti_kernel_part1ILj256ELj2Ei21rocsparse_complex_numIdES2_S2_EEvT1_PKT2_PKS3_PKT3_PT4_21rocsparse_index_base_,"axG",@progbits,_ZN9rocsparseL17doti_kernel_part1ILj256ELj2Ei21rocsparse_complex_numIdES2_S2_EEvT1_PKT2_PKS3_PKT3_PT4_21rocsparse_index_base_,comdat
.Lfunc_end9:
	.size	_ZN9rocsparseL17doti_kernel_part1ILj256ELj2Ei21rocsparse_complex_numIdES2_S2_EEvT1_PKT2_PKS3_PKT3_PT4_21rocsparse_index_base_, .Lfunc_end9-_ZN9rocsparseL17doti_kernel_part1ILj256ELj2Ei21rocsparse_complex_numIdES2_S2_EEvT1_PKT2_PKS3_PKT3_PT4_21rocsparse_index_base_
                                        ; -- End function
	.set _ZN9rocsparseL17doti_kernel_part1ILj256ELj2Ei21rocsparse_complex_numIdES2_S2_EEvT1_PKT2_PKS3_PKT3_PT4_21rocsparse_index_base_.num_vgpr, 24
	.set _ZN9rocsparseL17doti_kernel_part1ILj256ELj2Ei21rocsparse_complex_numIdES2_S2_EEvT1_PKT2_PKS3_PKT3_PT4_21rocsparse_index_base_.num_agpr, 0
	.set _ZN9rocsparseL17doti_kernel_part1ILj256ELj2Ei21rocsparse_complex_numIdES2_S2_EEvT1_PKT2_PKS3_PKT3_PT4_21rocsparse_index_base_.numbered_sgpr, 16
	.set _ZN9rocsparseL17doti_kernel_part1ILj256ELj2Ei21rocsparse_complex_numIdES2_S2_EEvT1_PKT2_PKS3_PKT3_PT4_21rocsparse_index_base_.num_named_barrier, 0
	.set _ZN9rocsparseL17doti_kernel_part1ILj256ELj2Ei21rocsparse_complex_numIdES2_S2_EEvT1_PKT2_PKS3_PKT3_PT4_21rocsparse_index_base_.private_seg_size, 0
	.set _ZN9rocsparseL17doti_kernel_part1ILj256ELj2Ei21rocsparse_complex_numIdES2_S2_EEvT1_PKT2_PKS3_PKT3_PT4_21rocsparse_index_base_.uses_vcc, 1
	.set _ZN9rocsparseL17doti_kernel_part1ILj256ELj2Ei21rocsparse_complex_numIdES2_S2_EEvT1_PKT2_PKS3_PKT3_PT4_21rocsparse_index_base_.uses_flat_scratch, 0
	.set _ZN9rocsparseL17doti_kernel_part1ILj256ELj2Ei21rocsparse_complex_numIdES2_S2_EEvT1_PKT2_PKS3_PKT3_PT4_21rocsparse_index_base_.has_dyn_sized_stack, 0
	.set _ZN9rocsparseL17doti_kernel_part1ILj256ELj2Ei21rocsparse_complex_numIdES2_S2_EEvT1_PKT2_PKS3_PKT3_PT4_21rocsparse_index_base_.has_recursion, 0
	.set _ZN9rocsparseL17doti_kernel_part1ILj256ELj2Ei21rocsparse_complex_numIdES2_S2_EEvT1_PKT2_PKS3_PKT3_PT4_21rocsparse_index_base_.has_indirect_call, 0
	.section	.AMDGPU.csdata,"",@progbits
; Kernel info:
; codeLenInByte = 1388
; TotalNumSgprs: 18
; NumVgprs: 24
; ScratchSize: 0
; MemoryBound: 0
; FloatMode: 240
; IeeeMode: 1
; LDSByteSize: 4096 bytes/workgroup (compile time only)
; SGPRBlocks: 0
; VGPRBlocks: 2
; NumSGPRsForWavesPerEU: 18
; NumVGPRsForWavesPerEU: 24
; Occupancy: 16
; WaveLimiterHint : 1
; COMPUTE_PGM_RSRC2:SCRATCH_EN: 0
; COMPUTE_PGM_RSRC2:USER_SGPR: 6
; COMPUTE_PGM_RSRC2:TRAP_HANDLER: 0
; COMPUTE_PGM_RSRC2:TGID_X_EN: 1
; COMPUTE_PGM_RSRC2:TGID_Y_EN: 0
; COMPUTE_PGM_RSRC2:TGID_Z_EN: 0
; COMPUTE_PGM_RSRC2:TIDIG_COMP_CNT: 0
	.section	.text._ZN9rocsparseL17doti_kernel_part2ILj256E21rocsparse_complex_numIdEEEvPT0_S4_,"axG",@progbits,_ZN9rocsparseL17doti_kernel_part2ILj256E21rocsparse_complex_numIdEEEvPT0_S4_,comdat
	.globl	_ZN9rocsparseL17doti_kernel_part2ILj256E21rocsparse_complex_numIdEEEvPT0_S4_ ; -- Begin function _ZN9rocsparseL17doti_kernel_part2ILj256E21rocsparse_complex_numIdEEEvPT0_S4_
	.p2align	8
	.type	_ZN9rocsparseL17doti_kernel_part2ILj256E21rocsparse_complex_numIdEEEvPT0_S4_,@function
_ZN9rocsparseL17doti_kernel_part2ILj256E21rocsparse_complex_numIdEEEvPT0_S4_: ; @_ZN9rocsparseL17doti_kernel_part2ILj256E21rocsparse_complex_numIdEEEvPT0_S4_
; %bb.0:
	s_load_dwordx4 s[0:3], s[4:5], 0x0
	v_lshlrev_b32_e32 v1, 4, v0
	s_mov_b32 s4, exec_lo
	s_waitcnt lgkmcnt(0)
	global_load_dwordx4 v[2:5], v1, s[0:1]
	s_waitcnt vmcnt(0)
	ds_write2_b64 v1, v[2:3], v[4:5] offset1:1
	s_waitcnt lgkmcnt(0)
	s_barrier
	buffer_gl0_inv
	v_cmpx_gt_u32_e32 0x80, v0
	s_cbranch_execz .LBB10_2
; %bb.1:
	ds_read_b128 v[2:5], v1 offset:2048
	ds_read_b128 v[6:9], v1
	s_waitcnt lgkmcnt(0)
	v_add_f64 v[2:3], v[2:3], v[6:7]
	v_add_f64 v[4:5], v[4:5], v[8:9]
	ds_write_b128 v1, v[2:5]
.LBB10_2:
	s_or_b32 exec_lo, exec_lo, s4
	s_mov_b32 s4, exec_lo
	s_waitcnt lgkmcnt(0)
	s_barrier
	buffer_gl0_inv
	v_cmpx_gt_u32_e32 64, v0
	s_cbranch_execz .LBB10_4
; %bb.3:
	ds_read_b128 v[2:5], v1 offset:1024
	ds_read_b128 v[6:9], v1
	s_waitcnt lgkmcnt(0)
	v_add_f64 v[2:3], v[2:3], v[6:7]
	v_add_f64 v[4:5], v[4:5], v[8:9]
	ds_write_b128 v1, v[2:5]
.LBB10_4:
	s_or_b32 exec_lo, exec_lo, s4
	s_mov_b32 s4, exec_lo
	;; [unrolled: 15-line block ×6, first 2 shown]
	s_waitcnt lgkmcnt(0)
	s_barrier
	buffer_gl0_inv
	v_cmpx_gt_u32_e32 2, v0
	s_cbranch_execz .LBB10_14
; %bb.13:
	ds_read_b128 v[2:5], v1
	ds_read_b128 v[6:9], v1 offset:32
	s_waitcnt lgkmcnt(0)
	v_add_f64 v[2:3], v[6:7], v[2:3]
	v_add_f64 v[4:5], v[8:9], v[4:5]
	ds_write_b128 v1, v[2:5]
.LBB10_14:
	s_or_b32 exec_lo, exec_lo, s4
	v_cmp_eq_u32_e32 vcc_lo, 0, v0
	s_waitcnt lgkmcnt(0)
	s_barrier
	buffer_gl0_inv
	s_and_saveexec_b32 s4, vcc_lo
	s_cbranch_execz .LBB10_16
; %bb.15:
	v_mov_b32_e32 v8, 0
	ds_read_b128 v[0:3], v8
	ds_read_b128 v[4:7], v8 offset:16
	s_waitcnt lgkmcnt(0)
	v_add_f64 v[0:1], v[4:5], v[0:1]
	v_add_f64 v[2:3], v[6:7], v[2:3]
	ds_write_b128 v8, v[0:3]
.LBB10_16:
	s_or_b32 exec_lo, exec_lo, s4
	s_waitcnt lgkmcnt(0)
	s_barrier
	buffer_gl0_inv
	s_and_saveexec_b32 s4, vcc_lo
	s_cbranch_execz .LBB10_18
; %bb.17:
	v_mov_b32_e32 v4, 0
	s_cmp_eq_u64 s[2:3], 0
	s_cselect_b32 s1, s1, s3
	s_cselect_b32 s0, s0, s2
	ds_read_b128 v[0:3], v4
	s_waitcnt lgkmcnt(0)
	global_store_dwordx4 v4, v[0:3], s[0:1]
.LBB10_18:
	s_endpgm
	.section	.rodata,"a",@progbits
	.p2align	6, 0x0
	.amdhsa_kernel _ZN9rocsparseL17doti_kernel_part2ILj256E21rocsparse_complex_numIdEEEvPT0_S4_
		.amdhsa_group_segment_fixed_size 4096
		.amdhsa_private_segment_fixed_size 0
		.amdhsa_kernarg_size 16
		.amdhsa_user_sgpr_count 6
		.amdhsa_user_sgpr_private_segment_buffer 1
		.amdhsa_user_sgpr_dispatch_ptr 0
		.amdhsa_user_sgpr_queue_ptr 0
		.amdhsa_user_sgpr_kernarg_segment_ptr 1
		.amdhsa_user_sgpr_dispatch_id 0
		.amdhsa_user_sgpr_flat_scratch_init 0
		.amdhsa_user_sgpr_private_segment_size 0
		.amdhsa_wavefront_size32 1
		.amdhsa_uses_dynamic_stack 0
		.amdhsa_system_sgpr_private_segment_wavefront_offset 0
		.amdhsa_system_sgpr_workgroup_id_x 1
		.amdhsa_system_sgpr_workgroup_id_y 0
		.amdhsa_system_sgpr_workgroup_id_z 0
		.amdhsa_system_sgpr_workgroup_info 0
		.amdhsa_system_vgpr_workitem_id 0
		.amdhsa_next_free_vgpr 10
		.amdhsa_next_free_sgpr 6
		.amdhsa_reserve_vcc 1
		.amdhsa_reserve_flat_scratch 0
		.amdhsa_float_round_mode_32 0
		.amdhsa_float_round_mode_16_64 0
		.amdhsa_float_denorm_mode_32 3
		.amdhsa_float_denorm_mode_16_64 3
		.amdhsa_dx10_clamp 1
		.amdhsa_ieee_mode 1
		.amdhsa_fp16_overflow 0
		.amdhsa_workgroup_processor_mode 1
		.amdhsa_memory_ordered 1
		.amdhsa_forward_progress 1
		.amdhsa_shared_vgpr_count 0
		.amdhsa_exception_fp_ieee_invalid_op 0
		.amdhsa_exception_fp_denorm_src 0
		.amdhsa_exception_fp_ieee_div_zero 0
		.amdhsa_exception_fp_ieee_overflow 0
		.amdhsa_exception_fp_ieee_underflow 0
		.amdhsa_exception_fp_ieee_inexact 0
		.amdhsa_exception_int_div_zero 0
	.end_amdhsa_kernel
	.section	.text._ZN9rocsparseL17doti_kernel_part2ILj256E21rocsparse_complex_numIdEEEvPT0_S4_,"axG",@progbits,_ZN9rocsparseL17doti_kernel_part2ILj256E21rocsparse_complex_numIdEEEvPT0_S4_,comdat
.Lfunc_end10:
	.size	_ZN9rocsparseL17doti_kernel_part2ILj256E21rocsparse_complex_numIdEEEvPT0_S4_, .Lfunc_end10-_ZN9rocsparseL17doti_kernel_part2ILj256E21rocsparse_complex_numIdEEEvPT0_S4_
                                        ; -- End function
	.set _ZN9rocsparseL17doti_kernel_part2ILj256E21rocsparse_complex_numIdEEEvPT0_S4_.num_vgpr, 10
	.set _ZN9rocsparseL17doti_kernel_part2ILj256E21rocsparse_complex_numIdEEEvPT0_S4_.num_agpr, 0
	.set _ZN9rocsparseL17doti_kernel_part2ILj256E21rocsparse_complex_numIdEEEvPT0_S4_.numbered_sgpr, 6
	.set _ZN9rocsparseL17doti_kernel_part2ILj256E21rocsparse_complex_numIdEEEvPT0_S4_.num_named_barrier, 0
	.set _ZN9rocsparseL17doti_kernel_part2ILj256E21rocsparse_complex_numIdEEEvPT0_S4_.private_seg_size, 0
	.set _ZN9rocsparseL17doti_kernel_part2ILj256E21rocsparse_complex_numIdEEEvPT0_S4_.uses_vcc, 1
	.set _ZN9rocsparseL17doti_kernel_part2ILj256E21rocsparse_complex_numIdEEEvPT0_S4_.uses_flat_scratch, 0
	.set _ZN9rocsparseL17doti_kernel_part2ILj256E21rocsparse_complex_numIdEEEvPT0_S4_.has_dyn_sized_stack, 0
	.set _ZN9rocsparseL17doti_kernel_part2ILj256E21rocsparse_complex_numIdEEEvPT0_S4_.has_recursion, 0
	.set _ZN9rocsparseL17doti_kernel_part2ILj256E21rocsparse_complex_numIdEEEvPT0_S4_.has_indirect_call, 0
	.section	.AMDGPU.csdata,"",@progbits
; Kernel info:
; codeLenInByte = 716
; TotalNumSgprs: 8
; NumVgprs: 10
; ScratchSize: 0
; MemoryBound: 0
; FloatMode: 240
; IeeeMode: 1
; LDSByteSize: 4096 bytes/workgroup (compile time only)
; SGPRBlocks: 0
; VGPRBlocks: 1
; NumSGPRsForWavesPerEU: 8
; NumVGPRsForWavesPerEU: 10
; Occupancy: 16
; WaveLimiterHint : 0
; COMPUTE_PGM_RSRC2:SCRATCH_EN: 0
; COMPUTE_PGM_RSRC2:USER_SGPR: 6
; COMPUTE_PGM_RSRC2:TRAP_HANDLER: 0
; COMPUTE_PGM_RSRC2:TGID_X_EN: 1
; COMPUTE_PGM_RSRC2:TGID_Y_EN: 0
; COMPUTE_PGM_RSRC2:TGID_Z_EN: 0
; COMPUTE_PGM_RSRC2:TIDIG_COMP_CNT: 0
	.section	.text._ZN9rocsparseL17doti_kernel_part1ILj256ELj2El21rocsparse_complex_numIdES2_S2_EEvT1_PKT2_PKS3_PKT3_PT4_21rocsparse_index_base_,"axG",@progbits,_ZN9rocsparseL17doti_kernel_part1ILj256ELj2El21rocsparse_complex_numIdES2_S2_EEvT1_PKT2_PKS3_PKT3_PT4_21rocsparse_index_base_,comdat
	.globl	_ZN9rocsparseL17doti_kernel_part1ILj256ELj2El21rocsparse_complex_numIdES2_S2_EEvT1_PKT2_PKS3_PKT3_PT4_21rocsparse_index_base_ ; -- Begin function _ZN9rocsparseL17doti_kernel_part1ILj256ELj2El21rocsparse_complex_numIdES2_S2_EEvT1_PKT2_PKS3_PKT3_PT4_21rocsparse_index_base_
	.p2align	8
	.type	_ZN9rocsparseL17doti_kernel_part1ILj256ELj2El21rocsparse_complex_numIdES2_S2_EEvT1_PKT2_PKS3_PKT3_PT4_21rocsparse_index_base_,@function
_ZN9rocsparseL17doti_kernel_part1ILj256ELj2El21rocsparse_complex_numIdES2_S2_EEvT1_PKT2_PKS3_PKT3_PT4_21rocsparse_index_base_: ; @_ZN9rocsparseL17doti_kernel_part1ILj256ELj2El21rocsparse_complex_numIdES2_S2_EEvT1_PKT2_PKS3_PKT3_PT4_21rocsparse_index_base_
; %bb.0:
	s_clause 0x3
	s_load_dword s20, s[4:5], 0x30
	s_load_dwordx8 s[8:15], s[4:5], 0x0
	s_load_dwordx2 s[2:3], s[4:5], 0x20
	s_load_dword s7, s[4:5], 0x28
	s_mov_b32 s1, 0
	s_lshl_b32 s4, s6, 8
	v_mov_b32_e32 v1, 0
	v_or_b32_e32 v9, s4, v0
	v_mov_b32_e32 v4, 0
	v_mov_b32_e32 v2, 0
	s_waitcnt lgkmcnt(0)
	s_lshl_b32 s0, s20, 9
	v_cmp_le_i64_e64 s5, s[8:9], s[0:1]
	s_and_b32 vcc_lo, exec_lo, s5
	s_cbranch_vccnz .LBB11_3
; %bb.1:
	v_add_nc_u32_e32 v3, s4, v9
	v_mov_b32_e32 v1, 0
	v_mov_b32_e32 v2, 0
	s_lshl_b64 s[16:17], s[0:1], 4
	s_lshl_b64 s[18:19], s[0:1], 3
	v_lshlrev_b64 v[5:6], 4, v[3:4]
	v_lshlrev_b64 v[3:4], 3, v[3:4]
	s_mov_b64 s[4:5], s[0:1]
	v_add_co_u32 v5, vcc_lo, s10, v5
	v_add_co_ci_u32_e64 v6, null, s11, v6, vcc_lo
	v_add_co_u32 v3, vcc_lo, s12, v3
	v_add_co_ci_u32_e64 v4, null, s13, v4, vcc_lo
	;; [unrolled: 2-line block ×4, first 2 shown]
	v_mov_b32_e32 v4, v2
	v_mov_b32_e32 v3, v1
.LBB11_2:                               ; =>This Inner Loop Header: Depth=1
	s_clause 0x1
	global_load_dwordx2 v[10:11], v[7:8], off offset:-2048
	global_load_dwordx2 v[18:19], v[7:8], off
	s_add_u32 s4, s4, s0
	s_addc_u32 s5, s5, 0
	v_cmp_lt_i64_e64 s1, s[4:5], s[8:9]
	s_waitcnt vmcnt(1)
	v_sub_co_u32 v10, vcc_lo, v10, s7
	v_subrev_co_ci_u32_e64 v11, null, 0, v11, vcc_lo
	v_add_co_u32 v12, vcc_lo, 0xfffff000, v5
	v_add_co_ci_u32_e64 v13, null, -1, v6, vcc_lo
	v_lshlrev_b64 v[10:11], 4, v[10:11]
	v_add_co_u32 v14, vcc_lo, s14, v10
	v_add_co_ci_u32_e64 v15, null, s15, v11, vcc_lo
	s_waitcnt vmcnt(0)
	v_sub_co_u32 v18, vcc_lo, v18, s7
	global_load_dwordx4 v[10:13], v[12:13], off
	global_load_dwordx4 v[14:17], v[14:15], off
	v_subrev_co_ci_u32_e64 v19, null, 0, v19, vcc_lo
	v_lshlrev_b64 v[18:19], 4, v[18:19]
	v_add_co_u32 v22, vcc_lo, s14, v18
	v_add_co_ci_u32_e64 v23, null, s15, v19, vcc_lo
	global_load_dwordx4 v[18:21], v[5:6], off
	global_load_dwordx4 v[22:25], v[22:23], off
	v_add_co_u32 v5, vcc_lo, v5, s16
	v_add_co_ci_u32_e64 v6, null, s17, v6, vcc_lo
	v_add_co_u32 v7, vcc_lo, v7, s18
	v_add_co_ci_u32_e64 v8, null, s19, v8, vcc_lo
	s_and_b32 vcc_lo, exec_lo, s1
	s_waitcnt vmcnt(2)
	v_fma_f64 v[1:2], v[14:15], v[10:11], v[1:2]
	v_fma_f64 v[3:4], v[16:17], v[10:11], v[3:4]
	v_fma_f64 v[1:2], -v[16:17], v[12:13], v[1:2]
	v_fma_f64 v[3:4], v[14:15], v[12:13], v[3:4]
	s_waitcnt vmcnt(0)
	v_fma_f64 v[1:2], v[22:23], v[18:19], v[1:2]
	v_fma_f64 v[3:4], v[24:25], v[18:19], v[3:4]
	v_fma_f64 v[1:2], -v[24:25], v[20:21], v[1:2]
	v_fma_f64 v[3:4], v[22:23], v[20:21], v[3:4]
	s_cbranch_vccnz .LBB11_2
	s_branch .LBB11_4
.LBB11_3:
	v_mov_b32_e32 v3, 0
	v_mov_b32_e32 v4, 0
	s_mov_b64 s[4:5], s[0:1]
.LBB11_4:
	v_sub_co_u32 v5, s0, v9, s0
	v_sub_co_ci_u32_e64 v6, null, 0, 0, s0
	s_mov_b32 s1, exec_lo
	v_add_co_u32 v5, vcc_lo, v5, s4
	v_add_co_ci_u32_e64 v6, null, s5, v6, vcc_lo
	v_cmpx_gt_i64_e64 s[8:9], v[5:6]
	s_cbranch_execz .LBB11_8
; %bb.5:
	v_lshlrev_b64 v[7:8], 4, v[5:6]
	v_lshlrev_b64 v[9:10], 3, v[5:6]
	s_mov_b32 s5, 0
	s_lshl_b32 s4, s20, 8
	v_add_co_u32 v7, vcc_lo, s10, v7
	v_add_co_ci_u32_e64 v8, null, s11, v8, vcc_lo
	s_lshl_b64 s[10:11], s[4:5], 4
	v_add_co_u32 v7, vcc_lo, v7, 8
	v_add_co_ci_u32_e64 v8, null, 0, v8, vcc_lo
	v_add_co_u32 v9, vcc_lo, s12, v9
	v_add_co_ci_u32_e64 v10, null, s13, v10, vcc_lo
	s_lshl_b64 s[12:13], s[4:5], 3
	s_inst_prefetch 0x1
	.p2align	6
.LBB11_6:                               ; =>This Inner Loop Header: Depth=1
	global_load_dwordx2 v[11:12], v[9:10], off
	v_add_co_u32 v9, s0, v9, s12
	v_add_co_ci_u32_e64 v10, null, s13, v10, s0
	s_waitcnt vmcnt(0)
	v_sub_co_u32 v11, vcc_lo, v11, s7
	v_subrev_co_ci_u32_e64 v12, null, 0, v12, vcc_lo
	v_lshlrev_b64 v[11:12], 4, v[11:12]
	v_add_co_u32 v15, vcc_lo, s14, v11
	v_add_co_ci_u32_e64 v16, null, s15, v12, vcc_lo
	v_add_co_u32 v5, vcc_lo, v5, s4
	global_load_dwordx4 v[11:14], v[7:8], off offset:-8
	global_load_dwordx4 v[15:18], v[15:16], off
	v_add_co_ci_u32_e64 v6, null, 0, v6, vcc_lo
	v_add_co_u32 v7, vcc_lo, v7, s10
	v_add_co_ci_u32_e64 v8, null, s11, v8, vcc_lo
	v_cmp_le_i64_e32 vcc_lo, s[8:9], v[5:6]
	s_or_b32 s5, vcc_lo, s5
	s_waitcnt vmcnt(0)
	v_fma_f64 v[1:2], v[15:16], v[11:12], v[1:2]
	v_fma_f64 v[3:4], v[17:18], v[11:12], v[3:4]
	v_fma_f64 v[1:2], -v[17:18], v[13:14], v[1:2]
	v_fma_f64 v[3:4], v[15:16], v[13:14], v[3:4]
	s_andn2_b32 exec_lo, exec_lo, s5
	s_cbranch_execnz .LBB11_6
; %bb.7:
	s_inst_prefetch 0x2
	s_or_b32 exec_lo, exec_lo, s5
.LBB11_8:
	s_or_b32 exec_lo, exec_lo, s1
	v_lshlrev_b32_e32 v5, 4, v0
	s_mov_b32 s0, exec_lo
	ds_write_b128 v5, v[1:4]
	s_waitcnt lgkmcnt(0)
	s_barrier
	buffer_gl0_inv
	v_cmpx_gt_u32_e32 0x80, v0
	s_cbranch_execz .LBB11_10
; %bb.9:
	ds_read_b128 v[1:4], v5 offset:2048
	ds_read_b128 v[6:9], v5
	s_waitcnt lgkmcnt(0)
	v_add_f64 v[1:2], v[1:2], v[6:7]
	v_add_f64 v[3:4], v[3:4], v[8:9]
	ds_write_b128 v5, v[1:4]
.LBB11_10:
	s_or_b32 exec_lo, exec_lo, s0
	s_mov_b32 s0, exec_lo
	s_waitcnt lgkmcnt(0)
	s_barrier
	buffer_gl0_inv
	v_cmpx_gt_u32_e32 64, v0
	s_cbranch_execz .LBB11_12
; %bb.11:
	ds_read_b128 v[1:4], v5 offset:1024
	ds_read_b128 v[6:9], v5
	s_waitcnt lgkmcnt(0)
	v_add_f64 v[1:2], v[1:2], v[6:7]
	v_add_f64 v[3:4], v[3:4], v[8:9]
	ds_write_b128 v5, v[1:4]
.LBB11_12:
	s_or_b32 exec_lo, exec_lo, s0
	s_mov_b32 s0, exec_lo
	;; [unrolled: 15-line block ×6, first 2 shown]
	s_waitcnt lgkmcnt(0)
	s_barrier
	buffer_gl0_inv
	v_cmpx_gt_u32_e32 2, v0
	s_cbranch_execz .LBB11_22
; %bb.21:
	ds_read_b128 v[1:4], v5
	ds_read_b128 v[6:9], v5 offset:32
	s_waitcnt lgkmcnt(0)
	v_add_f64 v[1:2], v[6:7], v[1:2]
	v_add_f64 v[3:4], v[8:9], v[3:4]
	ds_write_b128 v5, v[1:4]
.LBB11_22:
	s_or_b32 exec_lo, exec_lo, s0
	v_cmp_eq_u32_e32 vcc_lo, 0, v0
	s_waitcnt lgkmcnt(0)
	s_barrier
	buffer_gl0_inv
	s_and_saveexec_b32 s0, vcc_lo
	s_cbranch_execz .LBB11_24
; %bb.23:
	v_mov_b32_e32 v8, 0
	ds_read_b128 v[0:3], v8
	ds_read_b128 v[4:7], v8 offset:16
	s_waitcnt lgkmcnt(0)
	v_add_f64 v[0:1], v[4:5], v[0:1]
	v_add_f64 v[2:3], v[6:7], v[2:3]
	ds_write_b128 v8, v[0:3]
.LBB11_24:
	s_or_b32 exec_lo, exec_lo, s0
	s_waitcnt lgkmcnt(0)
	s_barrier
	buffer_gl0_inv
	s_and_saveexec_b32 s0, vcc_lo
	s_cbranch_execz .LBB11_26
; %bb.25:
	v_mov_b32_e32 v4, 0
	s_mov_b32 s7, 0
	s_lshl_b64 s[0:1], s[6:7], 4
	s_add_u32 s0, s2, s0
	ds_read_b128 v[0:3], v4
	s_addc_u32 s1, s3, s1
	s_waitcnt lgkmcnt(0)
	global_store_dwordx4 v4, v[0:3], s[0:1]
.LBB11_26:
	s_endpgm
	.section	.rodata,"a",@progbits
	.p2align	6, 0x0
	.amdhsa_kernel _ZN9rocsparseL17doti_kernel_part1ILj256ELj2El21rocsparse_complex_numIdES2_S2_EEvT1_PKT2_PKS3_PKT3_PT4_21rocsparse_index_base_
		.amdhsa_group_segment_fixed_size 4096
		.amdhsa_private_segment_fixed_size 0
		.amdhsa_kernarg_size 304
		.amdhsa_user_sgpr_count 6
		.amdhsa_user_sgpr_private_segment_buffer 1
		.amdhsa_user_sgpr_dispatch_ptr 0
		.amdhsa_user_sgpr_queue_ptr 0
		.amdhsa_user_sgpr_kernarg_segment_ptr 1
		.amdhsa_user_sgpr_dispatch_id 0
		.amdhsa_user_sgpr_flat_scratch_init 0
		.amdhsa_user_sgpr_private_segment_size 0
		.amdhsa_wavefront_size32 1
		.amdhsa_uses_dynamic_stack 0
		.amdhsa_system_sgpr_private_segment_wavefront_offset 0
		.amdhsa_system_sgpr_workgroup_id_x 1
		.amdhsa_system_sgpr_workgroup_id_y 0
		.amdhsa_system_sgpr_workgroup_id_z 0
		.amdhsa_system_sgpr_workgroup_info 0
		.amdhsa_system_vgpr_workitem_id 0
		.amdhsa_next_free_vgpr 26
		.amdhsa_next_free_sgpr 21
		.amdhsa_reserve_vcc 1
		.amdhsa_reserve_flat_scratch 0
		.amdhsa_float_round_mode_32 0
		.amdhsa_float_round_mode_16_64 0
		.amdhsa_float_denorm_mode_32 3
		.amdhsa_float_denorm_mode_16_64 3
		.amdhsa_dx10_clamp 1
		.amdhsa_ieee_mode 1
		.amdhsa_fp16_overflow 0
		.amdhsa_workgroup_processor_mode 1
		.amdhsa_memory_ordered 1
		.amdhsa_forward_progress 1
		.amdhsa_shared_vgpr_count 0
		.amdhsa_exception_fp_ieee_invalid_op 0
		.amdhsa_exception_fp_denorm_src 0
		.amdhsa_exception_fp_ieee_div_zero 0
		.amdhsa_exception_fp_ieee_overflow 0
		.amdhsa_exception_fp_ieee_underflow 0
		.amdhsa_exception_fp_ieee_inexact 0
		.amdhsa_exception_int_div_zero 0
	.end_amdhsa_kernel
	.section	.text._ZN9rocsparseL17doti_kernel_part1ILj256ELj2El21rocsparse_complex_numIdES2_S2_EEvT1_PKT2_PKS3_PKT3_PT4_21rocsparse_index_base_,"axG",@progbits,_ZN9rocsparseL17doti_kernel_part1ILj256ELj2El21rocsparse_complex_numIdES2_S2_EEvT1_PKT2_PKS3_PKT3_PT4_21rocsparse_index_base_,comdat
.Lfunc_end11:
	.size	_ZN9rocsparseL17doti_kernel_part1ILj256ELj2El21rocsparse_complex_numIdES2_S2_EEvT1_PKT2_PKS3_PKT3_PT4_21rocsparse_index_base_, .Lfunc_end11-_ZN9rocsparseL17doti_kernel_part1ILj256ELj2El21rocsparse_complex_numIdES2_S2_EEvT1_PKT2_PKS3_PKT3_PT4_21rocsparse_index_base_
                                        ; -- End function
	.set _ZN9rocsparseL17doti_kernel_part1ILj256ELj2El21rocsparse_complex_numIdES2_S2_EEvT1_PKT2_PKS3_PKT3_PT4_21rocsparse_index_base_.num_vgpr, 26
	.set _ZN9rocsparseL17doti_kernel_part1ILj256ELj2El21rocsparse_complex_numIdES2_S2_EEvT1_PKT2_PKS3_PKT3_PT4_21rocsparse_index_base_.num_agpr, 0
	.set _ZN9rocsparseL17doti_kernel_part1ILj256ELj2El21rocsparse_complex_numIdES2_S2_EEvT1_PKT2_PKS3_PKT3_PT4_21rocsparse_index_base_.numbered_sgpr, 21
	.set _ZN9rocsparseL17doti_kernel_part1ILj256ELj2El21rocsparse_complex_numIdES2_S2_EEvT1_PKT2_PKS3_PKT3_PT4_21rocsparse_index_base_.num_named_barrier, 0
	.set _ZN9rocsparseL17doti_kernel_part1ILj256ELj2El21rocsparse_complex_numIdES2_S2_EEvT1_PKT2_PKS3_PKT3_PT4_21rocsparse_index_base_.private_seg_size, 0
	.set _ZN9rocsparseL17doti_kernel_part1ILj256ELj2El21rocsparse_complex_numIdES2_S2_EEvT1_PKT2_PKS3_PKT3_PT4_21rocsparse_index_base_.uses_vcc, 1
	.set _ZN9rocsparseL17doti_kernel_part1ILj256ELj2El21rocsparse_complex_numIdES2_S2_EEvT1_PKT2_PKS3_PKT3_PT4_21rocsparse_index_base_.uses_flat_scratch, 0
	.set _ZN9rocsparseL17doti_kernel_part1ILj256ELj2El21rocsparse_complex_numIdES2_S2_EEvT1_PKT2_PKS3_PKT3_PT4_21rocsparse_index_base_.has_dyn_sized_stack, 0
	.set _ZN9rocsparseL17doti_kernel_part1ILj256ELj2El21rocsparse_complex_numIdES2_S2_EEvT1_PKT2_PKS3_PKT3_PT4_21rocsparse_index_base_.has_recursion, 0
	.set _ZN9rocsparseL17doti_kernel_part1ILj256ELj2El21rocsparse_complex_numIdES2_S2_EEvT1_PKT2_PKS3_PKT3_PT4_21rocsparse_index_base_.has_indirect_call, 0
	.section	.AMDGPU.csdata,"",@progbits
; Kernel info:
; codeLenInByte = 1516
; TotalNumSgprs: 23
; NumVgprs: 26
; ScratchSize: 0
; MemoryBound: 0
; FloatMode: 240
; IeeeMode: 1
; LDSByteSize: 4096 bytes/workgroup (compile time only)
; SGPRBlocks: 0
; VGPRBlocks: 3
; NumSGPRsForWavesPerEU: 23
; NumVGPRsForWavesPerEU: 26
; Occupancy: 16
; WaveLimiterHint : 1
; COMPUTE_PGM_RSRC2:SCRATCH_EN: 0
; COMPUTE_PGM_RSRC2:USER_SGPR: 6
; COMPUTE_PGM_RSRC2:TRAP_HANDLER: 0
; COMPUTE_PGM_RSRC2:TGID_X_EN: 1
; COMPUTE_PGM_RSRC2:TGID_Y_EN: 0
; COMPUTE_PGM_RSRC2:TGID_Z_EN: 0
; COMPUTE_PGM_RSRC2:TIDIG_COMP_CNT: 0
	.section	.text._ZN9rocsparseL17doti_kernel_part1ILj256ELj2EiaaiEEvT1_PKT2_PKS1_PKT3_PT4_21rocsparse_index_base_,"axG",@progbits,_ZN9rocsparseL17doti_kernel_part1ILj256ELj2EiaaiEEvT1_PKT2_PKS1_PKT3_PT4_21rocsparse_index_base_,comdat
	.globl	_ZN9rocsparseL17doti_kernel_part1ILj256ELj2EiaaiEEvT1_PKT2_PKS1_PKT3_PT4_21rocsparse_index_base_ ; -- Begin function _ZN9rocsparseL17doti_kernel_part1ILj256ELj2EiaaiEEvT1_PKT2_PKS1_PKT3_PT4_21rocsparse_index_base_
	.p2align	8
	.type	_ZN9rocsparseL17doti_kernel_part1ILj256ELj2EiaaiEEvT1_PKT2_PKS1_PKT3_PT4_21rocsparse_index_base_,@function
_ZN9rocsparseL17doti_kernel_part1ILj256ELj2EiaaiEEvT1_PKT2_PKS1_PKT3_PT4_21rocsparse_index_base_: ; @_ZN9rocsparseL17doti_kernel_part1ILj256ELj2EiaaiEEvT1_PKT2_PKS1_PKT3_PT4_21rocsparse_index_base_
; %bb.0:
	s_clause 0x3
	s_load_dword s2, s[4:5], 0x30
	s_load_dword s0, s[4:5], 0x0
	;; [unrolled: 1-line block ×3, first 2 shown]
	s_load_dwordx8 s[8:15], s[4:5], 0x8
	v_mov_b32_e32 v3, 0
	s_waitcnt lgkmcnt(0)
	s_lshl_b32 s3, s2, 9
	s_cmp_ge_i32 s3, s0
	s_mov_b32 s5, s3
	s_cbranch_scc1 .LBB12_3
; %bb.1:
	v_lshl_or_b32 v4, s6, 9, v0
	v_mov_b32_e32 v2, 0
	v_mov_b32_e32 v3, 0
	s_mov_b32 s4, 0
.LBB12_2:                               ; =>This Inner Loop Header: Depth=1
	v_add_nc_u32_e32 v1, s4, v4
	s_add_i32 s4, s4, s3
	s_add_i32 s5, s3, s4
	s_cmp_lt_i32 s5, s0
	v_lshlrev_b64 v[5:6], 2, v[1:2]
	global_load_sbyte v9, v1, s[8:9]
	v_add_nc_u32_e32 v1, 0x100, v1
	v_add_co_u32 v5, vcc_lo, s10, v5
	v_lshlrev_b64 v[7:8], 2, v[1:2]
	v_add_co_ci_u32_e64 v6, null, s11, v6, vcc_lo
	v_add_co_u32 v7, vcc_lo, s10, v7
	v_add_co_ci_u32_e64 v8, null, s11, v8, vcc_lo
	s_clause 0x1
	global_load_dword v5, v[5:6], off
	global_load_dword v6, v[7:8], off
	s_waitcnt vmcnt(1)
	v_subrev_nc_u32_e32 v5, s1, v5
	s_waitcnt vmcnt(0)
	v_subrev_nc_u32_e32 v7, s1, v6
	v_ashrrev_i32_e32 v6, 31, v5
	v_ashrrev_i32_e32 v8, 31, v7
	v_add_co_u32 v5, vcc_lo, s12, v5
	v_add_co_ci_u32_e64 v6, null, s13, v6, vcc_lo
	v_add_co_u32 v7, vcc_lo, s12, v7
	v_add_co_ci_u32_e64 v8, null, s13, v8, vcc_lo
	global_load_sbyte v1, v1, s[8:9]
	s_clause 0x1
	global_load_sbyte v5, v[5:6], off
	global_load_sbyte v6, v[7:8], off
	s_waitcnt vmcnt(2)
	v_perm_b32 v1, v1, v9, 0xc0c0400
	s_waitcnt vmcnt(0)
	v_perm_b32 v5, v6, v5, 0xc0c0400
	v_dot4c_i32_i8 v3, v1, v5
	s_cbranch_scc1 .LBB12_2
.LBB12_3:
	v_lshl_or_b32 v1, s6, 8, v0
	v_subrev_nc_u32_e32 v1, s3, v1
	s_mov_b32 s3, exec_lo
	v_add_nc_u32_e32 v1, s5, v1
	v_cmpx_gt_i32_e64 s0, v1
	s_cbranch_execz .LBB12_7
; %bb.4:
	s_lshl_b32 s4, s2, 8
	s_mov_b32 s2, 0
	.p2align	6
.LBB12_5:                               ; =>This Inner Loop Header: Depth=1
	v_ashrrev_i32_e32 v2, 31, v1
	v_lshlrev_b64 v[4:5], 2, v[1:2]
	v_add_co_u32 v4, vcc_lo, s10, v4
	v_add_co_ci_u32_e64 v5, null, s11, v5, vcc_lo
	global_load_dword v4, v[4:5], off
	s_waitcnt vmcnt(0)
	v_subrev_nc_u32_e32 v4, s1, v4
	v_ashrrev_i32_e32 v5, 31, v4
	v_add_co_u32 v4, vcc_lo, s12, v4
	v_add_co_ci_u32_e64 v5, null, s13, v5, vcc_lo
	v_add_co_u32 v6, vcc_lo, s8, v1
	v_add_co_ci_u32_e64 v7, null, s9, v2, vcc_lo
	global_load_sbyte v2, v[4:5], off
	global_load_sbyte v4, v[6:7], off
	v_add_nc_u32_e32 v1, s4, v1
	v_cmp_le_i32_e32 vcc_lo, s0, v1
	s_or_b32 s2, vcc_lo, s2
	s_waitcnt vmcnt(0)
	v_mad_i32_i24 v3, v4, v2, v3
	s_andn2_b32 exec_lo, exec_lo, s2
	s_cbranch_execnz .LBB12_5
; %bb.6:
	s_or_b32 exec_lo, exec_lo, s2
.LBB12_7:
	s_or_b32 exec_lo, exec_lo, s3
	v_lshlrev_b32_e32 v1, 2, v0
	s_mov_b32 s0, exec_lo
	ds_write_b32 v1, v3
	s_waitcnt lgkmcnt(0)
	s_barrier
	buffer_gl0_inv
	v_cmpx_gt_u32_e32 0x80, v0
	s_cbranch_execz .LBB12_9
; %bb.8:
	ds_read2st64_b32 v[2:3], v1 offset1:2
	s_waitcnt lgkmcnt(0)
	v_add_nc_u32_e32 v2, v3, v2
	ds_write_b32 v1, v2
.LBB12_9:
	s_or_b32 exec_lo, exec_lo, s0
	s_mov_b32 s0, exec_lo
	s_waitcnt lgkmcnt(0)
	s_barrier
	buffer_gl0_inv
	v_cmpx_gt_u32_e32 64, v0
	s_cbranch_execz .LBB12_11
; %bb.10:
	ds_read2st64_b32 v[2:3], v1 offset1:1
	s_waitcnt lgkmcnt(0)
	v_add_nc_u32_e32 v2, v3, v2
	ds_write_b32 v1, v2
.LBB12_11:
	s_or_b32 exec_lo, exec_lo, s0
	s_mov_b32 s0, exec_lo
	s_waitcnt lgkmcnt(0)
	s_barrier
	buffer_gl0_inv
	v_cmpx_gt_u32_e32 32, v0
	s_cbranch_execz .LBB12_13
; %bb.12:
	ds_read2_b32 v[2:3], v1 offset1:32
	s_waitcnt lgkmcnt(0)
	v_add_nc_u32_e32 v2, v3, v2
	ds_write_b32 v1, v2
.LBB12_13:
	s_or_b32 exec_lo, exec_lo, s0
	s_mov_b32 s0, exec_lo
	s_waitcnt lgkmcnt(0)
	s_barrier
	buffer_gl0_inv
	v_cmpx_gt_u32_e32 16, v0
	s_cbranch_execz .LBB12_15
; %bb.14:
	ds_read2_b32 v[2:3], v1 offset1:16
	s_waitcnt lgkmcnt(0)
	v_add_nc_u32_e32 v2, v3, v2
	ds_write_b32 v1, v2
.LBB12_15:
	;; [unrolled: 13-line block ×5, first 2 shown]
	s_or_b32 exec_lo, exec_lo, s0
	v_cmp_eq_u32_e32 vcc_lo, 0, v0
	s_waitcnt lgkmcnt(0)
	s_barrier
	buffer_gl0_inv
	s_and_saveexec_b32 s0, vcc_lo
	s_cbranch_execz .LBB12_23
; %bb.22:
	v_mov_b32_e32 v2, 0
	ds_read_b64 v[0:1], v2
	s_waitcnt lgkmcnt(0)
	v_add_nc_u32_e32 v0, v1, v0
	ds_write_b32 v2, v0
.LBB12_23:
	s_or_b32 exec_lo, exec_lo, s0
	s_waitcnt lgkmcnt(0)
	s_barrier
	buffer_gl0_inv
	s_and_saveexec_b32 s0, vcc_lo
	s_cbranch_execz .LBB12_25
; %bb.24:
	v_mov_b32_e32 v0, 0
	s_mov_b32 s7, 0
	s_lshl_b64 s[0:1], s[6:7], 2
	s_add_u32 s0, s14, s0
	ds_read_b32 v1, v0
	s_addc_u32 s1, s15, s1
	s_waitcnt lgkmcnt(0)
	global_store_dword v0, v1, s[0:1]
.LBB12_25:
	s_endpgm
	.section	.rodata,"a",@progbits
	.p2align	6, 0x0
	.amdhsa_kernel _ZN9rocsparseL17doti_kernel_part1ILj256ELj2EiaaiEEvT1_PKT2_PKS1_PKT3_PT4_21rocsparse_index_base_
		.amdhsa_group_segment_fixed_size 1024
		.amdhsa_private_segment_fixed_size 0
		.amdhsa_kernarg_size 304
		.amdhsa_user_sgpr_count 6
		.amdhsa_user_sgpr_private_segment_buffer 1
		.amdhsa_user_sgpr_dispatch_ptr 0
		.amdhsa_user_sgpr_queue_ptr 0
		.amdhsa_user_sgpr_kernarg_segment_ptr 1
		.amdhsa_user_sgpr_dispatch_id 0
		.amdhsa_user_sgpr_flat_scratch_init 0
		.amdhsa_user_sgpr_private_segment_size 0
		.amdhsa_wavefront_size32 1
		.amdhsa_uses_dynamic_stack 0
		.amdhsa_system_sgpr_private_segment_wavefront_offset 0
		.amdhsa_system_sgpr_workgroup_id_x 1
		.amdhsa_system_sgpr_workgroup_id_y 0
		.amdhsa_system_sgpr_workgroup_id_z 0
		.amdhsa_system_sgpr_workgroup_info 0
		.amdhsa_system_vgpr_workitem_id 0
		.amdhsa_next_free_vgpr 10
		.amdhsa_next_free_sgpr 16
		.amdhsa_reserve_vcc 1
		.amdhsa_reserve_flat_scratch 0
		.amdhsa_float_round_mode_32 0
		.amdhsa_float_round_mode_16_64 0
		.amdhsa_float_denorm_mode_32 3
		.amdhsa_float_denorm_mode_16_64 3
		.amdhsa_dx10_clamp 1
		.amdhsa_ieee_mode 1
		.amdhsa_fp16_overflow 0
		.amdhsa_workgroup_processor_mode 1
		.amdhsa_memory_ordered 1
		.amdhsa_forward_progress 1
		.amdhsa_shared_vgpr_count 0
		.amdhsa_exception_fp_ieee_invalid_op 0
		.amdhsa_exception_fp_denorm_src 0
		.amdhsa_exception_fp_ieee_div_zero 0
		.amdhsa_exception_fp_ieee_overflow 0
		.amdhsa_exception_fp_ieee_underflow 0
		.amdhsa_exception_fp_ieee_inexact 0
		.amdhsa_exception_int_div_zero 0
	.end_amdhsa_kernel
	.section	.text._ZN9rocsparseL17doti_kernel_part1ILj256ELj2EiaaiEEvT1_PKT2_PKS1_PKT3_PT4_21rocsparse_index_base_,"axG",@progbits,_ZN9rocsparseL17doti_kernel_part1ILj256ELj2EiaaiEEvT1_PKT2_PKS1_PKT3_PT4_21rocsparse_index_base_,comdat
.Lfunc_end12:
	.size	_ZN9rocsparseL17doti_kernel_part1ILj256ELj2EiaaiEEvT1_PKT2_PKS1_PKT3_PT4_21rocsparse_index_base_, .Lfunc_end12-_ZN9rocsparseL17doti_kernel_part1ILj256ELj2EiaaiEEvT1_PKT2_PKS1_PKT3_PT4_21rocsparse_index_base_
                                        ; -- End function
	.set _ZN9rocsparseL17doti_kernel_part1ILj256ELj2EiaaiEEvT1_PKT2_PKS1_PKT3_PT4_21rocsparse_index_base_.num_vgpr, 10
	.set _ZN9rocsparseL17doti_kernel_part1ILj256ELj2EiaaiEEvT1_PKT2_PKS1_PKT3_PT4_21rocsparse_index_base_.num_agpr, 0
	.set _ZN9rocsparseL17doti_kernel_part1ILj256ELj2EiaaiEEvT1_PKT2_PKS1_PKT3_PT4_21rocsparse_index_base_.numbered_sgpr, 16
	.set _ZN9rocsparseL17doti_kernel_part1ILj256ELj2EiaaiEEvT1_PKT2_PKS1_PKT3_PT4_21rocsparse_index_base_.num_named_barrier, 0
	.set _ZN9rocsparseL17doti_kernel_part1ILj256ELj2EiaaiEEvT1_PKT2_PKS1_PKT3_PT4_21rocsparse_index_base_.private_seg_size, 0
	.set _ZN9rocsparseL17doti_kernel_part1ILj256ELj2EiaaiEEvT1_PKT2_PKS1_PKT3_PT4_21rocsparse_index_base_.uses_vcc, 1
	.set _ZN9rocsparseL17doti_kernel_part1ILj256ELj2EiaaiEEvT1_PKT2_PKS1_PKT3_PT4_21rocsparse_index_base_.uses_flat_scratch, 0
	.set _ZN9rocsparseL17doti_kernel_part1ILj256ELj2EiaaiEEvT1_PKT2_PKS1_PKT3_PT4_21rocsparse_index_base_.has_dyn_sized_stack, 0
	.set _ZN9rocsparseL17doti_kernel_part1ILj256ELj2EiaaiEEvT1_PKT2_PKS1_PKT3_PT4_21rocsparse_index_base_.has_recursion, 0
	.set _ZN9rocsparseL17doti_kernel_part1ILj256ELj2EiaaiEEvT1_PKT2_PKS1_PKT3_PT4_21rocsparse_index_base_.has_indirect_call, 0
	.section	.AMDGPU.csdata,"",@progbits
; Kernel info:
; codeLenInByte = 1056
; TotalNumSgprs: 18
; NumVgprs: 10
; ScratchSize: 0
; MemoryBound: 0
; FloatMode: 240
; IeeeMode: 1
; LDSByteSize: 1024 bytes/workgroup (compile time only)
; SGPRBlocks: 0
; VGPRBlocks: 1
; NumSGPRsForWavesPerEU: 18
; NumVGPRsForWavesPerEU: 10
; Occupancy: 16
; WaveLimiterHint : 1
; COMPUTE_PGM_RSRC2:SCRATCH_EN: 0
; COMPUTE_PGM_RSRC2:USER_SGPR: 6
; COMPUTE_PGM_RSRC2:TRAP_HANDLER: 0
; COMPUTE_PGM_RSRC2:TGID_X_EN: 1
; COMPUTE_PGM_RSRC2:TGID_Y_EN: 0
; COMPUTE_PGM_RSRC2:TGID_Z_EN: 0
; COMPUTE_PGM_RSRC2:TIDIG_COMP_CNT: 0
	.section	.text._ZN9rocsparseL17doti_kernel_part2ILj256EiEEvPT0_S2_,"axG",@progbits,_ZN9rocsparseL17doti_kernel_part2ILj256EiEEvPT0_S2_,comdat
	.globl	_ZN9rocsparseL17doti_kernel_part2ILj256EiEEvPT0_S2_ ; -- Begin function _ZN9rocsparseL17doti_kernel_part2ILj256EiEEvPT0_S2_
	.p2align	8
	.type	_ZN9rocsparseL17doti_kernel_part2ILj256EiEEvPT0_S2_,@function
_ZN9rocsparseL17doti_kernel_part2ILj256EiEEvPT0_S2_: ; @_ZN9rocsparseL17doti_kernel_part2ILj256EiEEvPT0_S2_
; %bb.0:
	s_load_dwordx4 s[0:3], s[4:5], 0x0
	v_lshlrev_b32_e32 v1, 2, v0
	s_mov_b32 s4, exec_lo
	s_waitcnt lgkmcnt(0)
	global_load_dword v2, v1, s[0:1]
	s_waitcnt vmcnt(0)
	ds_write_b32 v1, v2
	s_waitcnt lgkmcnt(0)
	s_barrier
	buffer_gl0_inv
	v_cmpx_gt_u32_e32 0x80, v0
	s_cbranch_execz .LBB13_2
; %bb.1:
	ds_read2st64_b32 v[2:3], v1 offset1:2
	s_waitcnt lgkmcnt(0)
	v_add_nc_u32_e32 v2, v3, v2
	ds_write_b32 v1, v2
.LBB13_2:
	s_or_b32 exec_lo, exec_lo, s4
	s_mov_b32 s4, exec_lo
	s_waitcnt lgkmcnt(0)
	s_barrier
	buffer_gl0_inv
	v_cmpx_gt_u32_e32 64, v0
	s_cbranch_execz .LBB13_4
; %bb.3:
	ds_read2st64_b32 v[2:3], v1 offset1:1
	s_waitcnt lgkmcnt(0)
	v_add_nc_u32_e32 v2, v3, v2
	ds_write_b32 v1, v2
.LBB13_4:
	s_or_b32 exec_lo, exec_lo, s4
	s_mov_b32 s4, exec_lo
	s_waitcnt lgkmcnt(0)
	s_barrier
	buffer_gl0_inv
	v_cmpx_gt_u32_e32 32, v0
	s_cbranch_execz .LBB13_6
; %bb.5:
	ds_read2_b32 v[2:3], v1 offset1:32
	s_waitcnt lgkmcnt(0)
	v_add_nc_u32_e32 v2, v3, v2
	ds_write_b32 v1, v2
.LBB13_6:
	s_or_b32 exec_lo, exec_lo, s4
	s_mov_b32 s4, exec_lo
	s_waitcnt lgkmcnt(0)
	s_barrier
	buffer_gl0_inv
	v_cmpx_gt_u32_e32 16, v0
	s_cbranch_execz .LBB13_8
; %bb.7:
	ds_read2_b32 v[2:3], v1 offset1:16
	s_waitcnt lgkmcnt(0)
	v_add_nc_u32_e32 v2, v3, v2
	ds_write_b32 v1, v2
.LBB13_8:
	;; [unrolled: 13-line block ×5, first 2 shown]
	s_or_b32 exec_lo, exec_lo, s4
	v_cmp_eq_u32_e32 vcc_lo, 0, v0
	s_waitcnt lgkmcnt(0)
	s_barrier
	buffer_gl0_inv
	s_and_saveexec_b32 s4, vcc_lo
	s_cbranch_execz .LBB13_16
; %bb.15:
	v_mov_b32_e32 v2, 0
	ds_read_b64 v[0:1], v2
	s_waitcnt lgkmcnt(0)
	v_add_nc_u32_e32 v0, v1, v0
	ds_write_b32 v2, v0
.LBB13_16:
	s_or_b32 exec_lo, exec_lo, s4
	s_waitcnt lgkmcnt(0)
	s_barrier
	buffer_gl0_inv
	s_and_saveexec_b32 s4, vcc_lo
	s_cbranch_execz .LBB13_18
; %bb.17:
	v_mov_b32_e32 v0, 0
	s_cmp_eq_u64 s[2:3], 0
	s_cselect_b32 s1, s1, s3
	s_cselect_b32 s0, s0, s2
	ds_read_b32 v1, v0
	s_waitcnt lgkmcnt(0)
	global_store_dword v0, v1, s[0:1]
.LBB13_18:
	s_endpgm
	.section	.rodata,"a",@progbits
	.p2align	6, 0x0
	.amdhsa_kernel _ZN9rocsparseL17doti_kernel_part2ILj256EiEEvPT0_S2_
		.amdhsa_group_segment_fixed_size 1024
		.amdhsa_private_segment_fixed_size 0
		.amdhsa_kernarg_size 16
		.amdhsa_user_sgpr_count 6
		.amdhsa_user_sgpr_private_segment_buffer 1
		.amdhsa_user_sgpr_dispatch_ptr 0
		.amdhsa_user_sgpr_queue_ptr 0
		.amdhsa_user_sgpr_kernarg_segment_ptr 1
		.amdhsa_user_sgpr_dispatch_id 0
		.amdhsa_user_sgpr_flat_scratch_init 0
		.amdhsa_user_sgpr_private_segment_size 0
		.amdhsa_wavefront_size32 1
		.amdhsa_uses_dynamic_stack 0
		.amdhsa_system_sgpr_private_segment_wavefront_offset 0
		.amdhsa_system_sgpr_workgroup_id_x 1
		.amdhsa_system_sgpr_workgroup_id_y 0
		.amdhsa_system_sgpr_workgroup_id_z 0
		.amdhsa_system_sgpr_workgroup_info 0
		.amdhsa_system_vgpr_workitem_id 0
		.amdhsa_next_free_vgpr 4
		.amdhsa_next_free_sgpr 6
		.amdhsa_reserve_vcc 1
		.amdhsa_reserve_flat_scratch 0
		.amdhsa_float_round_mode_32 0
		.amdhsa_float_round_mode_16_64 0
		.amdhsa_float_denorm_mode_32 3
		.amdhsa_float_denorm_mode_16_64 3
		.amdhsa_dx10_clamp 1
		.amdhsa_ieee_mode 1
		.amdhsa_fp16_overflow 0
		.amdhsa_workgroup_processor_mode 1
		.amdhsa_memory_ordered 1
		.amdhsa_forward_progress 1
		.amdhsa_shared_vgpr_count 0
		.amdhsa_exception_fp_ieee_invalid_op 0
		.amdhsa_exception_fp_denorm_src 0
		.amdhsa_exception_fp_ieee_div_zero 0
		.amdhsa_exception_fp_ieee_overflow 0
		.amdhsa_exception_fp_ieee_underflow 0
		.amdhsa_exception_fp_ieee_inexact 0
		.amdhsa_exception_int_div_zero 0
	.end_amdhsa_kernel
	.section	.text._ZN9rocsparseL17doti_kernel_part2ILj256EiEEvPT0_S2_,"axG",@progbits,_ZN9rocsparseL17doti_kernel_part2ILj256EiEEvPT0_S2_,comdat
.Lfunc_end13:
	.size	_ZN9rocsparseL17doti_kernel_part2ILj256EiEEvPT0_S2_, .Lfunc_end13-_ZN9rocsparseL17doti_kernel_part2ILj256EiEEvPT0_S2_
                                        ; -- End function
	.set _ZN9rocsparseL17doti_kernel_part2ILj256EiEEvPT0_S2_.num_vgpr, 4
	.set _ZN9rocsparseL17doti_kernel_part2ILj256EiEEvPT0_S2_.num_agpr, 0
	.set _ZN9rocsparseL17doti_kernel_part2ILj256EiEEvPT0_S2_.numbered_sgpr, 6
	.set _ZN9rocsparseL17doti_kernel_part2ILj256EiEEvPT0_S2_.num_named_barrier, 0
	.set _ZN9rocsparseL17doti_kernel_part2ILj256EiEEvPT0_S2_.private_seg_size, 0
	.set _ZN9rocsparseL17doti_kernel_part2ILj256EiEEvPT0_S2_.uses_vcc, 1
	.set _ZN9rocsparseL17doti_kernel_part2ILj256EiEEvPT0_S2_.uses_flat_scratch, 0
	.set _ZN9rocsparseL17doti_kernel_part2ILj256EiEEvPT0_S2_.has_dyn_sized_stack, 0
	.set _ZN9rocsparseL17doti_kernel_part2ILj256EiEEvPT0_S2_.has_recursion, 0
	.set _ZN9rocsparseL17doti_kernel_part2ILj256EiEEvPT0_S2_.has_indirect_call, 0
	.section	.AMDGPU.csdata,"",@progbits
; Kernel info:
; codeLenInByte = 556
; TotalNumSgprs: 8
; NumVgprs: 4
; ScratchSize: 0
; MemoryBound: 0
; FloatMode: 240
; IeeeMode: 1
; LDSByteSize: 1024 bytes/workgroup (compile time only)
; SGPRBlocks: 0
; VGPRBlocks: 0
; NumSGPRsForWavesPerEU: 8
; NumVGPRsForWavesPerEU: 4
; Occupancy: 16
; WaveLimiterHint : 0
; COMPUTE_PGM_RSRC2:SCRATCH_EN: 0
; COMPUTE_PGM_RSRC2:USER_SGPR: 6
; COMPUTE_PGM_RSRC2:TRAP_HANDLER: 0
; COMPUTE_PGM_RSRC2:TGID_X_EN: 1
; COMPUTE_PGM_RSRC2:TGID_Y_EN: 0
; COMPUTE_PGM_RSRC2:TGID_Z_EN: 0
; COMPUTE_PGM_RSRC2:TIDIG_COMP_CNT: 0
	.section	.text._ZN9rocsparseL17doti_kernel_part1ILj256ELj2ElaaiEEvT1_PKT2_PKS1_PKT3_PT4_21rocsparse_index_base_,"axG",@progbits,_ZN9rocsparseL17doti_kernel_part1ILj256ELj2ElaaiEEvT1_PKT2_PKS1_PKT3_PT4_21rocsparse_index_base_,comdat
	.globl	_ZN9rocsparseL17doti_kernel_part1ILj256ELj2ElaaiEEvT1_PKT2_PKS1_PKT3_PT4_21rocsparse_index_base_ ; -- Begin function _ZN9rocsparseL17doti_kernel_part1ILj256ELj2ElaaiEEvT1_PKT2_PKS1_PKT3_PT4_21rocsparse_index_base_
	.p2align	8
	.type	_ZN9rocsparseL17doti_kernel_part1ILj256ELj2ElaaiEEvT1_PKT2_PKS1_PKT3_PT4_21rocsparse_index_base_,@function
_ZN9rocsparseL17doti_kernel_part1ILj256ELj2ElaaiEEvT1_PKT2_PKS1_PKT3_PT4_21rocsparse_index_base_: ; @_ZN9rocsparseL17doti_kernel_part1ILj256ELj2ElaaiEEvT1_PKT2_PKS1_PKT3_PT4_21rocsparse_index_base_
; %bb.0:
	s_clause 0x3
	s_load_dword s20, s[4:5], 0x30
	s_load_dwordx8 s[8:15], s[4:5], 0x0
	s_load_dwordx2 s[2:3], s[4:5], 0x20
	s_load_dword s7, s[4:5], 0x28
	s_mov_b32 s1, 0
	s_lshl_b32 s4, s6, 8
	v_mov_b32_e32 v2, 0
	v_or_b32_e32 v5, s4, v0
	s_waitcnt lgkmcnt(0)
	s_lshl_b32 s0, s20, 9
	v_cmp_le_i64_e64 s5, s[8:9], s[0:1]
	s_mov_b64 s[18:19], s[0:1]
	s_and_b32 vcc_lo, exec_lo, s5
	s_cbranch_vccnz .LBB14_3
; %bb.1:
	v_add_nc_u32_e32 v1, s4, v5
	v_mov_b32_e32 v2, 0
	s_mov_b64 s[16:17], 0
	v_lshlrev_b64 v[3:4], 3, v[1:2]
	v_add_co_u32 v1, s4, s10, v1
	v_add_co_ci_u32_e64 v6, null, s11, 0, s4
	s_lshl_b64 s[4:5], s[0:1], 3
	v_add_co_u32 v3, vcc_lo, s12, v3
	v_add_co_ci_u32_e64 v4, null, s13, v4, vcc_lo
	v_add_co_u32 v3, vcc_lo, 0x800, v3
	v_add_co_ci_u32_e64 v4, null, 0, v4, vcc_lo
.LBB14_2:                               ; =>This Inner Loop Header: Depth=1
	s_clause 0x1
	global_load_dwordx2 v[7:8], v[3:4], off offset:-2048
	global_load_dwordx2 v[9:10], v[3:4], off
	v_add_co_u32 v11, vcc_lo, v1, s16
	v_add_co_ci_u32_e64 v12, null, s17, v6, vcc_lo
	s_add_u32 s16, s16, s0
	s_addc_u32 s17, s17, 0
	s_add_u32 s18, s0, s16
	s_addc_u32 s19, 0, s17
	v_cmp_lt_i64_e64 s1, s[18:19], s[8:9]
	s_waitcnt vmcnt(1)
	v_sub_co_u32 v7, vcc_lo, v7, s7
	v_subrev_co_ci_u32_e64 v8, null, 0, v8, vcc_lo
	s_waitcnt vmcnt(0)
	v_sub_co_u32 v9, vcc_lo, v9, s7
	v_subrev_co_ci_u32_e64 v10, null, 0, v10, vcc_lo
	v_add_co_u32 v7, vcc_lo, s14, v7
	v_add_co_ci_u32_e64 v8, null, s15, v8, vcc_lo
	v_add_co_u32 v9, vcc_lo, s14, v9
	v_add_co_ci_u32_e64 v10, null, s15, v10, vcc_lo
	s_clause 0x1
	global_load_sbyte v13, v[11:12], off
	global_load_sbyte v11, v[11:12], off offset:256
	s_clause 0x1
	global_load_sbyte v7, v[7:8], off
	global_load_sbyte v8, v[9:10], off
	v_add_co_u32 v3, vcc_lo, v3, s4
	v_add_co_ci_u32_e64 v4, null, s5, v4, vcc_lo
	s_and_b32 vcc_lo, exec_lo, s1
	s_waitcnt vmcnt(2)
	v_perm_b32 v9, v11, v13, 0xc0c0400
	s_waitcnt vmcnt(0)
	v_perm_b32 v7, v8, v7, 0xc0c0400
	v_dot4c_i32_i8 v2, v9, v7
	s_cbranch_vccnz .LBB14_2
.LBB14_3:
	v_sub_co_u32 v1, s0, v5, s0
	v_sub_co_ci_u32_e64 v4, null, 0, 0, s0
	s_mov_b32 s1, exec_lo
	v_add_co_u32 v3, vcc_lo, v1, s18
	v_add_co_ci_u32_e64 v4, null, s19, v4, vcc_lo
	v_cmpx_gt_i64_e64 s[8:9], v[3:4]
	s_cbranch_execz .LBB14_7
; %bb.4:
	v_lshlrev_b64 v[5:6], 3, v[3:4]
	s_mov_b32 s5, 0
	s_lshl_b32 s4, s20, 8
	v_add_co_u32 v5, vcc_lo, s12, v5
	v_add_co_ci_u32_e64 v6, null, s13, v6, vcc_lo
	s_lshl_b64 s[12:13], s[4:5], 3
	.p2align	6
.LBB14_5:                               ; =>This Inner Loop Header: Depth=1
	global_load_dwordx2 v[7:8], v[5:6], off
	v_add_co_u32 v9, vcc_lo, s10, v3
	v_add_co_ci_u32_e64 v10, null, s11, v4, vcc_lo
	s_waitcnt vmcnt(0)
	v_sub_co_u32 v1, s0, v7, s7
	v_subrev_co_ci_u32_e64 v8, null, 0, v8, s0
	v_add_co_u32 v5, s0, v5, s12
	v_add_co_u32 v7, vcc_lo, s14, v1
	v_add_co_ci_u32_e64 v8, null, s15, v8, vcc_lo
	v_add_co_u32 v3, vcc_lo, v3, s4
	global_load_sbyte v1, v[9:10], off
	global_load_sbyte v7, v[7:8], off
	v_add_co_ci_u32_e64 v4, null, 0, v4, vcc_lo
	v_add_co_ci_u32_e64 v6, null, s13, v6, s0
	v_cmp_le_i64_e32 vcc_lo, s[8:9], v[3:4]
	s_or_b32 s5, vcc_lo, s5
	s_waitcnt vmcnt(0)
	v_mad_i32_i24 v2, v1, v7, v2
	s_andn2_b32 exec_lo, exec_lo, s5
	s_cbranch_execnz .LBB14_5
; %bb.6:
	s_or_b32 exec_lo, exec_lo, s5
.LBB14_7:
	s_or_b32 exec_lo, exec_lo, s1
	v_lshlrev_b32_e32 v1, 2, v0
	s_mov_b32 s0, exec_lo
	ds_write_b32 v1, v2
	s_waitcnt lgkmcnt(0)
	s_barrier
	buffer_gl0_inv
	v_cmpx_gt_u32_e32 0x80, v0
	s_cbranch_execz .LBB14_9
; %bb.8:
	ds_read2st64_b32 v[2:3], v1 offset1:2
	s_waitcnt lgkmcnt(0)
	v_add_nc_u32_e32 v2, v3, v2
	ds_write_b32 v1, v2
.LBB14_9:
	s_or_b32 exec_lo, exec_lo, s0
	s_mov_b32 s0, exec_lo
	s_waitcnt lgkmcnt(0)
	s_barrier
	buffer_gl0_inv
	v_cmpx_gt_u32_e32 64, v0
	s_cbranch_execz .LBB14_11
; %bb.10:
	ds_read2st64_b32 v[2:3], v1 offset1:1
	s_waitcnt lgkmcnt(0)
	v_add_nc_u32_e32 v2, v3, v2
	ds_write_b32 v1, v2
.LBB14_11:
	s_or_b32 exec_lo, exec_lo, s0
	s_mov_b32 s0, exec_lo
	s_waitcnt lgkmcnt(0)
	s_barrier
	buffer_gl0_inv
	v_cmpx_gt_u32_e32 32, v0
	s_cbranch_execz .LBB14_13
; %bb.12:
	ds_read2_b32 v[2:3], v1 offset1:32
	s_waitcnt lgkmcnt(0)
	v_add_nc_u32_e32 v2, v3, v2
	ds_write_b32 v1, v2
.LBB14_13:
	s_or_b32 exec_lo, exec_lo, s0
	s_mov_b32 s0, exec_lo
	s_waitcnt lgkmcnt(0)
	s_barrier
	buffer_gl0_inv
	v_cmpx_gt_u32_e32 16, v0
	s_cbranch_execz .LBB14_15
; %bb.14:
	ds_read2_b32 v[2:3], v1 offset1:16
	s_waitcnt lgkmcnt(0)
	v_add_nc_u32_e32 v2, v3, v2
	ds_write_b32 v1, v2
.LBB14_15:
	s_or_b32 exec_lo, exec_lo, s0
	s_mov_b32 s0, exec_lo
	s_waitcnt lgkmcnt(0)
	s_barrier
	buffer_gl0_inv
	v_cmpx_gt_u32_e32 8, v0
	s_cbranch_execz .LBB14_17
; %bb.16:
	ds_read2_b32 v[2:3], v1 offset1:8
	s_waitcnt lgkmcnt(0)
	v_add_nc_u32_e32 v2, v3, v2
	ds_write_b32 v1, v2
.LBB14_17:
	s_or_b32 exec_lo, exec_lo, s0
	s_mov_b32 s0, exec_lo
	s_waitcnt lgkmcnt(0)
	s_barrier
	buffer_gl0_inv
	v_cmpx_gt_u32_e32 4, v0
	s_cbranch_execz .LBB14_19
; %bb.18:
	ds_read2_b32 v[2:3], v1 offset1:4
	s_waitcnt lgkmcnt(0)
	v_add_nc_u32_e32 v2, v3, v2
	ds_write_b32 v1, v2
.LBB14_19:
	s_or_b32 exec_lo, exec_lo, s0
	s_mov_b32 s0, exec_lo
	s_waitcnt lgkmcnt(0)
	s_barrier
	buffer_gl0_inv
	v_cmpx_gt_u32_e32 2, v0
	s_cbranch_execz .LBB14_21
; %bb.20:
	ds_read2_b32 v[2:3], v1 offset1:2
	s_waitcnt lgkmcnt(0)
	v_add_nc_u32_e32 v2, v3, v2
	ds_write_b32 v1, v2
.LBB14_21:
	s_or_b32 exec_lo, exec_lo, s0
	v_cmp_eq_u32_e32 vcc_lo, 0, v0
	s_waitcnt lgkmcnt(0)
	s_barrier
	buffer_gl0_inv
	s_and_saveexec_b32 s0, vcc_lo
	s_cbranch_execz .LBB14_23
; %bb.22:
	v_mov_b32_e32 v2, 0
	ds_read_b64 v[0:1], v2
	s_waitcnt lgkmcnt(0)
	v_add_nc_u32_e32 v0, v1, v0
	ds_write_b32 v2, v0
.LBB14_23:
	s_or_b32 exec_lo, exec_lo, s0
	s_waitcnt lgkmcnt(0)
	s_barrier
	buffer_gl0_inv
	s_and_saveexec_b32 s0, vcc_lo
	s_cbranch_execz .LBB14_25
; %bb.24:
	v_mov_b32_e32 v0, 0
	s_mov_b32 s7, 0
	s_lshl_b64 s[0:1], s[6:7], 2
	s_add_u32 s0, s2, s0
	ds_read_b32 v1, v0
	s_addc_u32 s1, s3, s1
	s_waitcnt lgkmcnt(0)
	global_store_dword v0, v1, s[0:1]
.LBB14_25:
	s_endpgm
	.section	.rodata,"a",@progbits
	.p2align	6, 0x0
	.amdhsa_kernel _ZN9rocsparseL17doti_kernel_part1ILj256ELj2ElaaiEEvT1_PKT2_PKS1_PKT3_PT4_21rocsparse_index_base_
		.amdhsa_group_segment_fixed_size 1024
		.amdhsa_private_segment_fixed_size 0
		.amdhsa_kernarg_size 304
		.amdhsa_user_sgpr_count 6
		.amdhsa_user_sgpr_private_segment_buffer 1
		.amdhsa_user_sgpr_dispatch_ptr 0
		.amdhsa_user_sgpr_queue_ptr 0
		.amdhsa_user_sgpr_kernarg_segment_ptr 1
		.amdhsa_user_sgpr_dispatch_id 0
		.amdhsa_user_sgpr_flat_scratch_init 0
		.amdhsa_user_sgpr_private_segment_size 0
		.amdhsa_wavefront_size32 1
		.amdhsa_uses_dynamic_stack 0
		.amdhsa_system_sgpr_private_segment_wavefront_offset 0
		.amdhsa_system_sgpr_workgroup_id_x 1
		.amdhsa_system_sgpr_workgroup_id_y 0
		.amdhsa_system_sgpr_workgroup_id_z 0
		.amdhsa_system_sgpr_workgroup_info 0
		.amdhsa_system_vgpr_workitem_id 0
		.amdhsa_next_free_vgpr 14
		.amdhsa_next_free_sgpr 21
		.amdhsa_reserve_vcc 1
		.amdhsa_reserve_flat_scratch 0
		.amdhsa_float_round_mode_32 0
		.amdhsa_float_round_mode_16_64 0
		.amdhsa_float_denorm_mode_32 3
		.amdhsa_float_denorm_mode_16_64 3
		.amdhsa_dx10_clamp 1
		.amdhsa_ieee_mode 1
		.amdhsa_fp16_overflow 0
		.amdhsa_workgroup_processor_mode 1
		.amdhsa_memory_ordered 1
		.amdhsa_forward_progress 1
		.amdhsa_shared_vgpr_count 0
		.amdhsa_exception_fp_ieee_invalid_op 0
		.amdhsa_exception_fp_denorm_src 0
		.amdhsa_exception_fp_ieee_div_zero 0
		.amdhsa_exception_fp_ieee_overflow 0
		.amdhsa_exception_fp_ieee_underflow 0
		.amdhsa_exception_fp_ieee_inexact 0
		.amdhsa_exception_int_div_zero 0
	.end_amdhsa_kernel
	.section	.text._ZN9rocsparseL17doti_kernel_part1ILj256ELj2ElaaiEEvT1_PKT2_PKS1_PKT3_PT4_21rocsparse_index_base_,"axG",@progbits,_ZN9rocsparseL17doti_kernel_part1ILj256ELj2ElaaiEEvT1_PKT2_PKS1_PKT3_PT4_21rocsparse_index_base_,comdat
.Lfunc_end14:
	.size	_ZN9rocsparseL17doti_kernel_part1ILj256ELj2ElaaiEEvT1_PKT2_PKS1_PKT3_PT4_21rocsparse_index_base_, .Lfunc_end14-_ZN9rocsparseL17doti_kernel_part1ILj256ELj2ElaaiEEvT1_PKT2_PKS1_PKT3_PT4_21rocsparse_index_base_
                                        ; -- End function
	.set _ZN9rocsparseL17doti_kernel_part1ILj256ELj2ElaaiEEvT1_PKT2_PKS1_PKT3_PT4_21rocsparse_index_base_.num_vgpr, 14
	.set _ZN9rocsparseL17doti_kernel_part1ILj256ELj2ElaaiEEvT1_PKT2_PKS1_PKT3_PT4_21rocsparse_index_base_.num_agpr, 0
	.set _ZN9rocsparseL17doti_kernel_part1ILj256ELj2ElaaiEEvT1_PKT2_PKS1_PKT3_PT4_21rocsparse_index_base_.numbered_sgpr, 21
	.set _ZN9rocsparseL17doti_kernel_part1ILj256ELj2ElaaiEEvT1_PKT2_PKS1_PKT3_PT4_21rocsparse_index_base_.num_named_barrier, 0
	.set _ZN9rocsparseL17doti_kernel_part1ILj256ELj2ElaaiEEvT1_PKT2_PKS1_PKT3_PT4_21rocsparse_index_base_.private_seg_size, 0
	.set _ZN9rocsparseL17doti_kernel_part1ILj256ELj2ElaaiEEvT1_PKT2_PKS1_PKT3_PT4_21rocsparse_index_base_.uses_vcc, 1
	.set _ZN9rocsparseL17doti_kernel_part1ILj256ELj2ElaaiEEvT1_PKT2_PKS1_PKT3_PT4_21rocsparse_index_base_.uses_flat_scratch, 0
	.set _ZN9rocsparseL17doti_kernel_part1ILj256ELj2ElaaiEEvT1_PKT2_PKS1_PKT3_PT4_21rocsparse_index_base_.has_dyn_sized_stack, 0
	.set _ZN9rocsparseL17doti_kernel_part1ILj256ELj2ElaaiEEvT1_PKT2_PKS1_PKT3_PT4_21rocsparse_index_base_.has_recursion, 0
	.set _ZN9rocsparseL17doti_kernel_part1ILj256ELj2ElaaiEEvT1_PKT2_PKS1_PKT3_PT4_21rocsparse_index_base_.has_indirect_call, 0
	.section	.AMDGPU.csdata,"",@progbits
; Kernel info:
; codeLenInByte = 1192
; TotalNumSgprs: 23
; NumVgprs: 14
; ScratchSize: 0
; MemoryBound: 0
; FloatMode: 240
; IeeeMode: 1
; LDSByteSize: 1024 bytes/workgroup (compile time only)
; SGPRBlocks: 0
; VGPRBlocks: 1
; NumSGPRsForWavesPerEU: 23
; NumVGPRsForWavesPerEU: 14
; Occupancy: 16
; WaveLimiterHint : 1
; COMPUTE_PGM_RSRC2:SCRATCH_EN: 0
; COMPUTE_PGM_RSRC2:USER_SGPR: 6
; COMPUTE_PGM_RSRC2:TRAP_HANDLER: 0
; COMPUTE_PGM_RSRC2:TGID_X_EN: 1
; COMPUTE_PGM_RSRC2:TGID_Y_EN: 0
; COMPUTE_PGM_RSRC2:TGID_Z_EN: 0
; COMPUTE_PGM_RSRC2:TIDIG_COMP_CNT: 0
	.section	.text._ZN9rocsparseL17doti_kernel_part1ILj256ELj2EiDF16_DF16_fEEvT1_PKT2_PKS1_PKT3_PT4_21rocsparse_index_base_,"axG",@progbits,_ZN9rocsparseL17doti_kernel_part1ILj256ELj2EiDF16_DF16_fEEvT1_PKT2_PKS1_PKT3_PT4_21rocsparse_index_base_,comdat
	.globl	_ZN9rocsparseL17doti_kernel_part1ILj256ELj2EiDF16_DF16_fEEvT1_PKT2_PKS1_PKT3_PT4_21rocsparse_index_base_ ; -- Begin function _ZN9rocsparseL17doti_kernel_part1ILj256ELj2EiDF16_DF16_fEEvT1_PKT2_PKS1_PKT3_PT4_21rocsparse_index_base_
	.p2align	8
	.type	_ZN9rocsparseL17doti_kernel_part1ILj256ELj2EiDF16_DF16_fEEvT1_PKT2_PKS1_PKT3_PT4_21rocsparse_index_base_,@function
_ZN9rocsparseL17doti_kernel_part1ILj256ELj2EiDF16_DF16_fEEvT1_PKT2_PKS1_PKT3_PT4_21rocsparse_index_base_: ; @_ZN9rocsparseL17doti_kernel_part1ILj256ELj2EiDF16_DF16_fEEvT1_PKT2_PKS1_PKT3_PT4_21rocsparse_index_base_
; %bb.0:
	s_clause 0x3
	s_load_dword s2, s[4:5], 0x30
	s_load_dword s0, s[4:5], 0x0
	;; [unrolled: 1-line block ×3, first 2 shown]
	s_load_dwordx8 s[8:15], s[4:5], 0x8
	v_mov_b32_e32 v3, 0
	s_waitcnt lgkmcnt(0)
	s_lshl_b32 s3, s2, 9
	s_cmp_ge_i32 s3, s0
	s_mov_b32 s5, s3
	s_cbranch_scc1 .LBB15_3
; %bb.1:
	v_lshl_or_b32 v4, s6, 9, v0
	v_mov_b32_e32 v2, 0
	v_mov_b32_e32 v3, 0
	s_mov_b32 s4, 0
.LBB15_2:                               ; =>This Inner Loop Header: Depth=1
	v_add_nc_u32_e32 v1, s4, v4
	s_add_i32 s4, s4, s3
	s_add_i32 s5, s3, s4
	s_cmp_lt_i32 s5, s0
	v_lshlrev_b64 v[5:6], 2, v[1:2]
	v_lshlrev_b64 v[7:8], 1, v[1:2]
	v_add_nc_u32_e32 v1, 0x100, v1
	v_add_co_u32 v5, vcc_lo, s10, v5
	v_lshlrev_b64 v[9:10], 2, v[1:2]
	v_add_co_ci_u32_e64 v6, null, s11, v6, vcc_lo
	v_add_co_u32 v9, vcc_lo, s10, v9
	v_add_co_ci_u32_e64 v10, null, s11, v10, vcc_lo
	s_clause 0x1
	global_load_dword v11, v[5:6], off
	global_load_dword v9, v[9:10], off
	v_add_co_u32 v7, vcc_lo, s8, v7
	v_add_co_ci_u32_e64 v8, null, s9, v8, vcc_lo
	v_lshlrev_b64 v[5:6], 1, v[1:2]
	global_load_ushort v1, v[7:8], off
	v_add_co_u32 v5, vcc_lo, s8, v5
	v_add_co_ci_u32_e64 v6, null, s9, v6, vcc_lo
	s_waitcnt vmcnt(2)
	v_subrev_nc_u32_e32 v7, s1, v11
	s_waitcnt vmcnt(1)
	v_subrev_nc_u32_e32 v9, s1, v9
	v_ashrrev_i32_e32 v8, 31, v7
	v_ashrrev_i32_e32 v10, 31, v9
	v_lshlrev_b64 v[7:8], 1, v[7:8]
	v_lshlrev_b64 v[9:10], 1, v[9:10]
	v_add_co_u32 v7, vcc_lo, s12, v7
	v_add_co_ci_u32_e64 v8, null, s13, v8, vcc_lo
	global_load_ushort v11, v[7:8], off
	v_add_co_u32 v7, vcc_lo, s12, v9
	v_add_co_ci_u32_e64 v8, null, s13, v10, vcc_lo
	global_load_ushort v5, v[5:6], off
	global_load_ushort v6, v[7:8], off
	s_waitcnt vmcnt(2)
	v_fma_mix_f32 v1, v11, v1, v3 op_sel_hi:[1,1,0]
	s_waitcnt vmcnt(0)
	v_fma_mix_f32 v3, v6, v5, v1 op_sel_hi:[1,1,0]
	s_cbranch_scc1 .LBB15_2
.LBB15_3:
	v_lshl_or_b32 v1, s6, 8, v0
	v_subrev_nc_u32_e32 v1, s3, v1
	s_mov_b32 s3, exec_lo
	v_add_nc_u32_e32 v1, s5, v1
	v_cmpx_gt_i32_e64 s0, v1
	s_cbranch_execz .LBB15_7
; %bb.4:
	s_lshl_b32 s4, s2, 8
	s_mov_b32 s2, 0
	s_inst_prefetch 0x1
	.p2align	6
.LBB15_5:                               ; =>This Inner Loop Header: Depth=1
	v_ashrrev_i32_e32 v2, 31, v1
	v_lshlrev_b64 v[4:5], 2, v[1:2]
	v_lshlrev_b64 v[6:7], 1, v[1:2]
	v_add_nc_u32_e32 v1, s4, v1
	v_add_co_u32 v4, vcc_lo, s10, v4
	v_add_co_ci_u32_e64 v5, null, s11, v5, vcc_lo
	global_load_dword v4, v[4:5], off
	s_waitcnt vmcnt(0)
	v_subrev_nc_u32_e32 v4, s1, v4
	v_ashrrev_i32_e32 v5, 31, v4
	v_lshlrev_b64 v[4:5], 1, v[4:5]
	v_add_co_u32 v4, vcc_lo, s12, v4
	v_add_co_ci_u32_e64 v5, null, s13, v5, vcc_lo
	v_add_co_u32 v6, vcc_lo, s8, v6
	v_add_co_ci_u32_e64 v7, null, s9, v7, vcc_lo
	global_load_ushort v2, v[4:5], off
	global_load_ushort v4, v[6:7], off
	v_cmp_le_i32_e32 vcc_lo, s0, v1
	s_or_b32 s2, vcc_lo, s2
	s_waitcnt vmcnt(0)
	v_fma_mix_f32 v3, v2, v4, v3 op_sel_hi:[1,1,0]
	s_andn2_b32 exec_lo, exec_lo, s2
	s_cbranch_execnz .LBB15_5
; %bb.6:
	s_inst_prefetch 0x2
	s_or_b32 exec_lo, exec_lo, s2
.LBB15_7:
	s_or_b32 exec_lo, exec_lo, s3
	v_lshlrev_b32_e32 v1, 2, v0
	s_mov_b32 s0, exec_lo
	ds_write_b32 v1, v3
	s_waitcnt lgkmcnt(0)
	s_barrier
	buffer_gl0_inv
	v_cmpx_gt_u32_e32 0x80, v0
	s_cbranch_execz .LBB15_9
; %bb.8:
	ds_read2st64_b32 v[2:3], v1 offset1:2
	s_waitcnt lgkmcnt(0)
	v_add_f32_e32 v2, v2, v3
	ds_write_b32 v1, v2
.LBB15_9:
	s_or_b32 exec_lo, exec_lo, s0
	s_mov_b32 s0, exec_lo
	s_waitcnt lgkmcnt(0)
	s_barrier
	buffer_gl0_inv
	v_cmpx_gt_u32_e32 64, v0
	s_cbranch_execz .LBB15_11
; %bb.10:
	ds_read2st64_b32 v[2:3], v1 offset1:1
	s_waitcnt lgkmcnt(0)
	v_add_f32_e32 v2, v2, v3
	ds_write_b32 v1, v2
.LBB15_11:
	s_or_b32 exec_lo, exec_lo, s0
	s_mov_b32 s0, exec_lo
	s_waitcnt lgkmcnt(0)
	s_barrier
	buffer_gl0_inv
	v_cmpx_gt_u32_e32 32, v0
	s_cbranch_execz .LBB15_13
; %bb.12:
	ds_read2_b32 v[2:3], v1 offset1:32
	s_waitcnt lgkmcnt(0)
	v_add_f32_e32 v2, v2, v3
	ds_write_b32 v1, v2
.LBB15_13:
	s_or_b32 exec_lo, exec_lo, s0
	s_mov_b32 s0, exec_lo
	s_waitcnt lgkmcnt(0)
	s_barrier
	buffer_gl0_inv
	v_cmpx_gt_u32_e32 16, v0
	s_cbranch_execz .LBB15_15
; %bb.14:
	ds_read2_b32 v[2:3], v1 offset1:16
	s_waitcnt lgkmcnt(0)
	v_add_f32_e32 v2, v2, v3
	ds_write_b32 v1, v2
.LBB15_15:
	s_or_b32 exec_lo, exec_lo, s0
	s_mov_b32 s0, exec_lo
	s_waitcnt lgkmcnt(0)
	s_barrier
	buffer_gl0_inv
	v_cmpx_gt_u32_e32 8, v0
	s_cbranch_execz .LBB15_17
; %bb.16:
	ds_read2_b32 v[2:3], v1 offset1:8
	s_waitcnt lgkmcnt(0)
	v_add_f32_e32 v2, v2, v3
	ds_write_b32 v1, v2
.LBB15_17:
	s_or_b32 exec_lo, exec_lo, s0
	s_mov_b32 s0, exec_lo
	s_waitcnt lgkmcnt(0)
	s_barrier
	buffer_gl0_inv
	v_cmpx_gt_u32_e32 4, v0
	s_cbranch_execz .LBB15_19
; %bb.18:
	ds_read2_b32 v[2:3], v1 offset1:4
	s_waitcnt lgkmcnt(0)
	v_add_f32_e32 v2, v2, v3
	ds_write_b32 v1, v2
.LBB15_19:
	s_or_b32 exec_lo, exec_lo, s0
	s_mov_b32 s0, exec_lo
	s_waitcnt lgkmcnt(0)
	s_barrier
	buffer_gl0_inv
	v_cmpx_gt_u32_e32 2, v0
	s_cbranch_execz .LBB15_21
; %bb.20:
	ds_read2_b32 v[2:3], v1 offset1:2
	s_waitcnt lgkmcnt(0)
	v_add_f32_e32 v2, v2, v3
	ds_write_b32 v1, v2
.LBB15_21:
	s_or_b32 exec_lo, exec_lo, s0
	v_cmp_eq_u32_e32 vcc_lo, 0, v0
	s_waitcnt lgkmcnt(0)
	s_barrier
	buffer_gl0_inv
	s_and_saveexec_b32 s0, vcc_lo
	s_cbranch_execz .LBB15_23
; %bb.22:
	v_mov_b32_e32 v2, 0
	ds_read_b64 v[0:1], v2
	s_waitcnt lgkmcnt(0)
	v_add_f32_e32 v0, v0, v1
	ds_write_b32 v2, v0
.LBB15_23:
	s_or_b32 exec_lo, exec_lo, s0
	s_waitcnt lgkmcnt(0)
	s_barrier
	buffer_gl0_inv
	s_and_saveexec_b32 s0, vcc_lo
	s_cbranch_execz .LBB15_25
; %bb.24:
	v_mov_b32_e32 v0, 0
	s_mov_b32 s7, 0
	s_lshl_b64 s[0:1], s[6:7], 2
	s_add_u32 s0, s14, s0
	ds_read_b32 v1, v0
	s_addc_u32 s1, s15, s1
	s_waitcnt lgkmcnt(0)
	global_store_dword v0, v1, s[0:1]
.LBB15_25:
	s_endpgm
	.section	.rodata,"a",@progbits
	.p2align	6, 0x0
	.amdhsa_kernel _ZN9rocsparseL17doti_kernel_part1ILj256ELj2EiDF16_DF16_fEEvT1_PKT2_PKS1_PKT3_PT4_21rocsparse_index_base_
		.amdhsa_group_segment_fixed_size 1024
		.amdhsa_private_segment_fixed_size 0
		.amdhsa_kernarg_size 304
		.amdhsa_user_sgpr_count 6
		.amdhsa_user_sgpr_private_segment_buffer 1
		.amdhsa_user_sgpr_dispatch_ptr 0
		.amdhsa_user_sgpr_queue_ptr 0
		.amdhsa_user_sgpr_kernarg_segment_ptr 1
		.amdhsa_user_sgpr_dispatch_id 0
		.amdhsa_user_sgpr_flat_scratch_init 0
		.amdhsa_user_sgpr_private_segment_size 0
		.amdhsa_wavefront_size32 1
		.amdhsa_uses_dynamic_stack 0
		.amdhsa_system_sgpr_private_segment_wavefront_offset 0
		.amdhsa_system_sgpr_workgroup_id_x 1
		.amdhsa_system_sgpr_workgroup_id_y 0
		.amdhsa_system_sgpr_workgroup_id_z 0
		.amdhsa_system_sgpr_workgroup_info 0
		.amdhsa_system_vgpr_workitem_id 0
		.amdhsa_next_free_vgpr 12
		.amdhsa_next_free_sgpr 16
		.amdhsa_reserve_vcc 1
		.amdhsa_reserve_flat_scratch 0
		.amdhsa_float_round_mode_32 0
		.amdhsa_float_round_mode_16_64 0
		.amdhsa_float_denorm_mode_32 3
		.amdhsa_float_denorm_mode_16_64 3
		.amdhsa_dx10_clamp 1
		.amdhsa_ieee_mode 1
		.amdhsa_fp16_overflow 0
		.amdhsa_workgroup_processor_mode 1
		.amdhsa_memory_ordered 1
		.amdhsa_forward_progress 1
		.amdhsa_shared_vgpr_count 0
		.amdhsa_exception_fp_ieee_invalid_op 0
		.amdhsa_exception_fp_denorm_src 0
		.amdhsa_exception_fp_ieee_div_zero 0
		.amdhsa_exception_fp_ieee_overflow 0
		.amdhsa_exception_fp_ieee_underflow 0
		.amdhsa_exception_fp_ieee_inexact 0
		.amdhsa_exception_int_div_zero 0
	.end_amdhsa_kernel
	.section	.text._ZN9rocsparseL17doti_kernel_part1ILj256ELj2EiDF16_DF16_fEEvT1_PKT2_PKS1_PKT3_PT4_21rocsparse_index_base_,"axG",@progbits,_ZN9rocsparseL17doti_kernel_part1ILj256ELj2EiDF16_DF16_fEEvT1_PKT2_PKS1_PKT3_PT4_21rocsparse_index_base_,comdat
.Lfunc_end15:
	.size	_ZN9rocsparseL17doti_kernel_part1ILj256ELj2EiDF16_DF16_fEEvT1_PKT2_PKS1_PKT3_PT4_21rocsparse_index_base_, .Lfunc_end15-_ZN9rocsparseL17doti_kernel_part1ILj256ELj2EiDF16_DF16_fEEvT1_PKT2_PKS1_PKT3_PT4_21rocsparse_index_base_
                                        ; -- End function
	.set _ZN9rocsparseL17doti_kernel_part1ILj256ELj2EiDF16_DF16_fEEvT1_PKT2_PKS1_PKT3_PT4_21rocsparse_index_base_.num_vgpr, 12
	.set _ZN9rocsparseL17doti_kernel_part1ILj256ELj2EiDF16_DF16_fEEvT1_PKT2_PKS1_PKT3_PT4_21rocsparse_index_base_.num_agpr, 0
	.set _ZN9rocsparseL17doti_kernel_part1ILj256ELj2EiDF16_DF16_fEEvT1_PKT2_PKS1_PKT3_PT4_21rocsparse_index_base_.numbered_sgpr, 16
	.set _ZN9rocsparseL17doti_kernel_part1ILj256ELj2EiDF16_DF16_fEEvT1_PKT2_PKS1_PKT3_PT4_21rocsparse_index_base_.num_named_barrier, 0
	.set _ZN9rocsparseL17doti_kernel_part1ILj256ELj2EiDF16_DF16_fEEvT1_PKT2_PKS1_PKT3_PT4_21rocsparse_index_base_.private_seg_size, 0
	.set _ZN9rocsparseL17doti_kernel_part1ILj256ELj2EiDF16_DF16_fEEvT1_PKT2_PKS1_PKT3_PT4_21rocsparse_index_base_.uses_vcc, 1
	.set _ZN9rocsparseL17doti_kernel_part1ILj256ELj2EiDF16_DF16_fEEvT1_PKT2_PKS1_PKT3_PT4_21rocsparse_index_base_.uses_flat_scratch, 0
	.set _ZN9rocsparseL17doti_kernel_part1ILj256ELj2EiDF16_DF16_fEEvT1_PKT2_PKS1_PKT3_PT4_21rocsparse_index_base_.has_dyn_sized_stack, 0
	.set _ZN9rocsparseL17doti_kernel_part1ILj256ELj2EiDF16_DF16_fEEvT1_PKT2_PKS1_PKT3_PT4_21rocsparse_index_base_.has_recursion, 0
	.set _ZN9rocsparseL17doti_kernel_part1ILj256ELj2EiDF16_DF16_fEEvT1_PKT2_PKS1_PKT3_PT4_21rocsparse_index_base_.has_indirect_call, 0
	.section	.AMDGPU.csdata,"",@progbits
; Kernel info:
; codeLenInByte = 1140
; TotalNumSgprs: 18
; NumVgprs: 12
; ScratchSize: 0
; MemoryBound: 0
; FloatMode: 240
; IeeeMode: 1
; LDSByteSize: 1024 bytes/workgroup (compile time only)
; SGPRBlocks: 0
; VGPRBlocks: 1
; NumSGPRsForWavesPerEU: 18
; NumVGPRsForWavesPerEU: 12
; Occupancy: 16
; WaveLimiterHint : 1
; COMPUTE_PGM_RSRC2:SCRATCH_EN: 0
; COMPUTE_PGM_RSRC2:USER_SGPR: 6
; COMPUTE_PGM_RSRC2:TRAP_HANDLER: 0
; COMPUTE_PGM_RSRC2:TGID_X_EN: 1
; COMPUTE_PGM_RSRC2:TGID_Y_EN: 0
; COMPUTE_PGM_RSRC2:TGID_Z_EN: 0
; COMPUTE_PGM_RSRC2:TIDIG_COMP_CNT: 0
	.section	.text._ZN9rocsparseL17doti_kernel_part1ILj256ELj2ElDF16_DF16_fEEvT1_PKT2_PKS1_PKT3_PT4_21rocsparse_index_base_,"axG",@progbits,_ZN9rocsparseL17doti_kernel_part1ILj256ELj2ElDF16_DF16_fEEvT1_PKT2_PKS1_PKT3_PT4_21rocsparse_index_base_,comdat
	.globl	_ZN9rocsparseL17doti_kernel_part1ILj256ELj2ElDF16_DF16_fEEvT1_PKT2_PKS1_PKT3_PT4_21rocsparse_index_base_ ; -- Begin function _ZN9rocsparseL17doti_kernel_part1ILj256ELj2ElDF16_DF16_fEEvT1_PKT2_PKS1_PKT3_PT4_21rocsparse_index_base_
	.p2align	8
	.type	_ZN9rocsparseL17doti_kernel_part1ILj256ELj2ElDF16_DF16_fEEvT1_PKT2_PKS1_PKT3_PT4_21rocsparse_index_base_,@function
_ZN9rocsparseL17doti_kernel_part1ILj256ELj2ElDF16_DF16_fEEvT1_PKT2_PKS1_PKT3_PT4_21rocsparse_index_base_: ; @_ZN9rocsparseL17doti_kernel_part1ILj256ELj2ElDF16_DF16_fEEvT1_PKT2_PKS1_PKT3_PT4_21rocsparse_index_base_
; %bb.0:
	s_clause 0x3
	s_load_dword s20, s[4:5], 0x30
	s_load_dwordx8 s[8:15], s[4:5], 0x0
	s_load_dwordx2 s[2:3], s[4:5], 0x20
	s_load_dword s7, s[4:5], 0x28
	s_mov_b32 s1, 0
	s_lshl_b32 s4, s6, 8
	v_mov_b32_e32 v2, 0
	v_or_b32_e32 v7, s4, v0
	s_waitcnt lgkmcnt(0)
	s_lshl_b32 s0, s20, 9
	v_cmp_le_i64_e64 s5, s[8:9], s[0:1]
	s_and_b32 vcc_lo, exec_lo, s5
	s_cbranch_vccnz .LBB16_3
; %bb.1:
	v_add_nc_u32_e32 v1, s4, v7
	v_mov_b32_e32 v2, 0
	s_lshl_b64 s[16:17], s[0:1], 1
	s_lshl_b64 s[18:19], s[0:1], 3
	s_mov_b64 s[4:5], s[0:1]
	v_lshlrev_b64 v[3:4], 1, v[1:2]
	v_lshlrev_b64 v[5:6], 3, v[1:2]
	v_add_co_u32 v1, vcc_lo, s10, v3
	v_add_co_ci_u32_e64 v4, null, s11, v4, vcc_lo
	v_add_co_u32 v5, vcc_lo, s12, v5
	v_add_co_ci_u32_e64 v6, null, s13, v6, vcc_lo
	;; [unrolled: 2-line block ×4, first 2 shown]
.LBB16_2:                               ; =>This Inner Loop Header: Depth=1
	s_clause 0x1
	global_load_dwordx2 v[8:9], v[5:6], off offset:-2048
	global_load_dwordx2 v[10:11], v[5:6], off
	global_load_ushort v1, v[3:4], off offset:-512
	s_add_u32 s4, s4, s0
	s_addc_u32 s5, s5, 0
	v_cmp_lt_i64_e64 s1, s[4:5], s[8:9]
	s_waitcnt vmcnt(2)
	v_sub_co_u32 v8, vcc_lo, v8, s7
	v_subrev_co_ci_u32_e64 v9, null, 0, v9, vcc_lo
	s_waitcnt vmcnt(1)
	v_sub_co_u32 v10, vcc_lo, v10, s7
	v_subrev_co_ci_u32_e64 v11, null, 0, v11, vcc_lo
	v_lshlrev_b64 v[8:9], 1, v[8:9]
	v_lshlrev_b64 v[10:11], 1, v[10:11]
	v_add_co_u32 v8, vcc_lo, s14, v8
	v_add_co_ci_u32_e64 v9, null, s15, v9, vcc_lo
	v_add_co_u32 v10, vcc_lo, s14, v10
	v_add_co_ci_u32_e64 v11, null, s15, v11, vcc_lo
	global_load_ushort v8, v[8:9], off
	global_load_ushort v9, v[3:4], off
	;; [unrolled: 1-line block ×3, first 2 shown]
	v_add_co_u32 v3, vcc_lo, v3, s16
	v_add_co_ci_u32_e64 v4, null, s17, v4, vcc_lo
	v_add_co_u32 v5, vcc_lo, v5, s18
	v_add_co_ci_u32_e64 v6, null, s19, v6, vcc_lo
	s_and_b32 vcc_lo, exec_lo, s1
	s_waitcnt vmcnt(2)
	v_fma_mix_f32 v1, v8, v1, v2 op_sel_hi:[1,1,0]
	s_waitcnt vmcnt(0)
	v_fma_mix_f32 v2, v10, v9, v1 op_sel_hi:[1,1,0]
	s_cbranch_vccnz .LBB16_2
	s_branch .LBB16_4
.LBB16_3:
	s_mov_b64 s[4:5], s[0:1]
.LBB16_4:
	v_sub_co_u32 v1, s0, v7, s0
	v_sub_co_ci_u32_e64 v4, null, 0, 0, s0
	s_mov_b32 s1, exec_lo
	v_add_co_u32 v3, vcc_lo, v1, s4
	v_add_co_ci_u32_e64 v4, null, s5, v4, vcc_lo
	v_cmpx_gt_i64_e64 s[8:9], v[3:4]
	s_cbranch_execz .LBB16_8
; %bb.5:
	v_lshlrev_b64 v[5:6], 1, v[3:4]
	v_lshlrev_b64 v[7:8], 3, v[3:4]
	s_mov_b32 s5, 0
	s_lshl_b32 s4, s20, 8
	v_add_co_u32 v5, vcc_lo, s10, v5
	v_add_co_ci_u32_e64 v6, null, s11, v6, vcc_lo
	v_add_co_u32 v7, vcc_lo, s12, v7
	v_add_co_ci_u32_e64 v8, null, s13, v8, vcc_lo
	s_lshl_b64 s[10:11], s[4:5], 1
	s_lshl_b64 s[12:13], s[4:5], 3
	s_inst_prefetch 0x1
	.p2align	6
.LBB16_6:                               ; =>This Inner Loop Header: Depth=1
	global_load_dwordx2 v[9:10], v[7:8], off
	v_add_co_u32 v7, s0, v7, s12
	v_add_co_ci_u32_e64 v8, null, s13, v8, s0
	s_waitcnt vmcnt(0)
	v_sub_co_u32 v9, vcc_lo, v9, s7
	v_subrev_co_ci_u32_e64 v10, null, 0, v10, vcc_lo
	v_lshlrev_b64 v[9:10], 1, v[9:10]
	v_add_co_u32 v9, vcc_lo, s14, v9
	v_add_co_ci_u32_e64 v10, null, s15, v10, vcc_lo
	v_add_co_u32 v3, vcc_lo, v3, s4
	global_load_ushort v1, v[5:6], off
	global_load_ushort v9, v[9:10], off
	v_add_co_ci_u32_e64 v4, null, 0, v4, vcc_lo
	v_add_co_u32 v5, vcc_lo, v5, s10
	v_add_co_ci_u32_e64 v6, null, s11, v6, vcc_lo
	v_cmp_le_i64_e32 vcc_lo, s[8:9], v[3:4]
	s_or_b32 s5, vcc_lo, s5
	s_waitcnt vmcnt(0)
	v_fma_mix_f32 v2, v9, v1, v2 op_sel_hi:[1,1,0]
	s_andn2_b32 exec_lo, exec_lo, s5
	s_cbranch_execnz .LBB16_6
; %bb.7:
	s_inst_prefetch 0x2
	s_or_b32 exec_lo, exec_lo, s5
.LBB16_8:
	s_or_b32 exec_lo, exec_lo, s1
	v_lshlrev_b32_e32 v1, 2, v0
	s_mov_b32 s0, exec_lo
	ds_write_b32 v1, v2
	s_waitcnt lgkmcnt(0)
	s_barrier
	buffer_gl0_inv
	v_cmpx_gt_u32_e32 0x80, v0
	s_cbranch_execz .LBB16_10
; %bb.9:
	ds_read2st64_b32 v[2:3], v1 offset1:2
	s_waitcnt lgkmcnt(0)
	v_add_f32_e32 v2, v2, v3
	ds_write_b32 v1, v2
.LBB16_10:
	s_or_b32 exec_lo, exec_lo, s0
	s_mov_b32 s0, exec_lo
	s_waitcnt lgkmcnt(0)
	s_barrier
	buffer_gl0_inv
	v_cmpx_gt_u32_e32 64, v0
	s_cbranch_execz .LBB16_12
; %bb.11:
	ds_read2st64_b32 v[2:3], v1 offset1:1
	s_waitcnt lgkmcnt(0)
	v_add_f32_e32 v2, v2, v3
	ds_write_b32 v1, v2
.LBB16_12:
	s_or_b32 exec_lo, exec_lo, s0
	s_mov_b32 s0, exec_lo
	s_waitcnt lgkmcnt(0)
	s_barrier
	buffer_gl0_inv
	v_cmpx_gt_u32_e32 32, v0
	s_cbranch_execz .LBB16_14
; %bb.13:
	ds_read2_b32 v[2:3], v1 offset1:32
	s_waitcnt lgkmcnt(0)
	v_add_f32_e32 v2, v2, v3
	ds_write_b32 v1, v2
.LBB16_14:
	s_or_b32 exec_lo, exec_lo, s0
	s_mov_b32 s0, exec_lo
	s_waitcnt lgkmcnt(0)
	s_barrier
	buffer_gl0_inv
	v_cmpx_gt_u32_e32 16, v0
	s_cbranch_execz .LBB16_16
; %bb.15:
	ds_read2_b32 v[2:3], v1 offset1:16
	s_waitcnt lgkmcnt(0)
	v_add_f32_e32 v2, v2, v3
	ds_write_b32 v1, v2
.LBB16_16:
	s_or_b32 exec_lo, exec_lo, s0
	s_mov_b32 s0, exec_lo
	s_waitcnt lgkmcnt(0)
	s_barrier
	buffer_gl0_inv
	v_cmpx_gt_u32_e32 8, v0
	s_cbranch_execz .LBB16_18
; %bb.17:
	ds_read2_b32 v[2:3], v1 offset1:8
	s_waitcnt lgkmcnt(0)
	v_add_f32_e32 v2, v2, v3
	ds_write_b32 v1, v2
.LBB16_18:
	s_or_b32 exec_lo, exec_lo, s0
	s_mov_b32 s0, exec_lo
	s_waitcnt lgkmcnt(0)
	s_barrier
	buffer_gl0_inv
	v_cmpx_gt_u32_e32 4, v0
	s_cbranch_execz .LBB16_20
; %bb.19:
	ds_read2_b32 v[2:3], v1 offset1:4
	s_waitcnt lgkmcnt(0)
	v_add_f32_e32 v2, v2, v3
	ds_write_b32 v1, v2
.LBB16_20:
	s_or_b32 exec_lo, exec_lo, s0
	s_mov_b32 s0, exec_lo
	s_waitcnt lgkmcnt(0)
	s_barrier
	buffer_gl0_inv
	v_cmpx_gt_u32_e32 2, v0
	s_cbranch_execz .LBB16_22
; %bb.21:
	ds_read2_b32 v[2:3], v1 offset1:2
	s_waitcnt lgkmcnt(0)
	v_add_f32_e32 v2, v2, v3
	ds_write_b32 v1, v2
.LBB16_22:
	s_or_b32 exec_lo, exec_lo, s0
	v_cmp_eq_u32_e32 vcc_lo, 0, v0
	s_waitcnt lgkmcnt(0)
	s_barrier
	buffer_gl0_inv
	s_and_saveexec_b32 s0, vcc_lo
	s_cbranch_execz .LBB16_24
; %bb.23:
	v_mov_b32_e32 v2, 0
	ds_read_b64 v[0:1], v2
	s_waitcnt lgkmcnt(0)
	v_add_f32_e32 v0, v0, v1
	ds_write_b32 v2, v0
.LBB16_24:
	s_or_b32 exec_lo, exec_lo, s0
	s_waitcnt lgkmcnt(0)
	s_barrier
	buffer_gl0_inv
	s_and_saveexec_b32 s0, vcc_lo
	s_cbranch_execz .LBB16_26
; %bb.25:
	v_mov_b32_e32 v0, 0
	s_mov_b32 s7, 0
	s_lshl_b64 s[0:1], s[6:7], 2
	s_add_u32 s0, s2, s0
	ds_read_b32 v1, v0
	s_addc_u32 s1, s3, s1
	s_waitcnt lgkmcnt(0)
	global_store_dword v0, v1, s[0:1]
.LBB16_26:
	s_endpgm
	.section	.rodata,"a",@progbits
	.p2align	6, 0x0
	.amdhsa_kernel _ZN9rocsparseL17doti_kernel_part1ILj256ELj2ElDF16_DF16_fEEvT1_PKT2_PKS1_PKT3_PT4_21rocsparse_index_base_
		.amdhsa_group_segment_fixed_size 1024
		.amdhsa_private_segment_fixed_size 0
		.amdhsa_kernarg_size 304
		.amdhsa_user_sgpr_count 6
		.amdhsa_user_sgpr_private_segment_buffer 1
		.amdhsa_user_sgpr_dispatch_ptr 0
		.amdhsa_user_sgpr_queue_ptr 0
		.amdhsa_user_sgpr_kernarg_segment_ptr 1
		.amdhsa_user_sgpr_dispatch_id 0
		.amdhsa_user_sgpr_flat_scratch_init 0
		.amdhsa_user_sgpr_private_segment_size 0
		.amdhsa_wavefront_size32 1
		.amdhsa_uses_dynamic_stack 0
		.amdhsa_system_sgpr_private_segment_wavefront_offset 0
		.amdhsa_system_sgpr_workgroup_id_x 1
		.amdhsa_system_sgpr_workgroup_id_y 0
		.amdhsa_system_sgpr_workgroup_id_z 0
		.amdhsa_system_sgpr_workgroup_info 0
		.amdhsa_system_vgpr_workitem_id 0
		.amdhsa_next_free_vgpr 12
		.amdhsa_next_free_sgpr 21
		.amdhsa_reserve_vcc 1
		.amdhsa_reserve_flat_scratch 0
		.amdhsa_float_round_mode_32 0
		.amdhsa_float_round_mode_16_64 0
		.amdhsa_float_denorm_mode_32 3
		.amdhsa_float_denorm_mode_16_64 3
		.amdhsa_dx10_clamp 1
		.amdhsa_ieee_mode 1
		.amdhsa_fp16_overflow 0
		.amdhsa_workgroup_processor_mode 1
		.amdhsa_memory_ordered 1
		.amdhsa_forward_progress 1
		.amdhsa_shared_vgpr_count 0
		.amdhsa_exception_fp_ieee_invalid_op 0
		.amdhsa_exception_fp_denorm_src 0
		.amdhsa_exception_fp_ieee_div_zero 0
		.amdhsa_exception_fp_ieee_overflow 0
		.amdhsa_exception_fp_ieee_underflow 0
		.amdhsa_exception_fp_ieee_inexact 0
		.amdhsa_exception_int_div_zero 0
	.end_amdhsa_kernel
	.section	.text._ZN9rocsparseL17doti_kernel_part1ILj256ELj2ElDF16_DF16_fEEvT1_PKT2_PKS1_PKT3_PT4_21rocsparse_index_base_,"axG",@progbits,_ZN9rocsparseL17doti_kernel_part1ILj256ELj2ElDF16_DF16_fEEvT1_PKT2_PKS1_PKT3_PT4_21rocsparse_index_base_,comdat
.Lfunc_end16:
	.size	_ZN9rocsparseL17doti_kernel_part1ILj256ELj2ElDF16_DF16_fEEvT1_PKT2_PKS1_PKT3_PT4_21rocsparse_index_base_, .Lfunc_end16-_ZN9rocsparseL17doti_kernel_part1ILj256ELj2ElDF16_DF16_fEEvT1_PKT2_PKS1_PKT3_PT4_21rocsparse_index_base_
                                        ; -- End function
	.set _ZN9rocsparseL17doti_kernel_part1ILj256ELj2ElDF16_DF16_fEEvT1_PKT2_PKS1_PKT3_PT4_21rocsparse_index_base_.num_vgpr, 12
	.set _ZN9rocsparseL17doti_kernel_part1ILj256ELj2ElDF16_DF16_fEEvT1_PKT2_PKS1_PKT3_PT4_21rocsparse_index_base_.num_agpr, 0
	.set _ZN9rocsparseL17doti_kernel_part1ILj256ELj2ElDF16_DF16_fEEvT1_PKT2_PKS1_PKT3_PT4_21rocsparse_index_base_.numbered_sgpr, 21
	.set _ZN9rocsparseL17doti_kernel_part1ILj256ELj2ElDF16_DF16_fEEvT1_PKT2_PKS1_PKT3_PT4_21rocsparse_index_base_.num_named_barrier, 0
	.set _ZN9rocsparseL17doti_kernel_part1ILj256ELj2ElDF16_DF16_fEEvT1_PKT2_PKS1_PKT3_PT4_21rocsparse_index_base_.private_seg_size, 0
	.set _ZN9rocsparseL17doti_kernel_part1ILj256ELj2ElDF16_DF16_fEEvT1_PKT2_PKS1_PKT3_PT4_21rocsparse_index_base_.uses_vcc, 1
	.set _ZN9rocsparseL17doti_kernel_part1ILj256ELj2ElDF16_DF16_fEEvT1_PKT2_PKS1_PKT3_PT4_21rocsparse_index_base_.uses_flat_scratch, 0
	.set _ZN9rocsparseL17doti_kernel_part1ILj256ELj2ElDF16_DF16_fEEvT1_PKT2_PKS1_PKT3_PT4_21rocsparse_index_base_.has_dyn_sized_stack, 0
	.set _ZN9rocsparseL17doti_kernel_part1ILj256ELj2ElDF16_DF16_fEEvT1_PKT2_PKS1_PKT3_PT4_21rocsparse_index_base_.has_recursion, 0
	.set _ZN9rocsparseL17doti_kernel_part1ILj256ELj2ElDF16_DF16_fEEvT1_PKT2_PKS1_PKT3_PT4_21rocsparse_index_base_.has_indirect_call, 0
	.section	.AMDGPU.csdata,"",@progbits
; Kernel info:
; codeLenInByte = 1268
; TotalNumSgprs: 23
; NumVgprs: 12
; ScratchSize: 0
; MemoryBound: 0
; FloatMode: 240
; IeeeMode: 1
; LDSByteSize: 1024 bytes/workgroup (compile time only)
; SGPRBlocks: 0
; VGPRBlocks: 1
; NumSGPRsForWavesPerEU: 23
; NumVGPRsForWavesPerEU: 12
; Occupancy: 16
; WaveLimiterHint : 1
; COMPUTE_PGM_RSRC2:SCRATCH_EN: 0
; COMPUTE_PGM_RSRC2:USER_SGPR: 6
; COMPUTE_PGM_RSRC2:TRAP_HANDLER: 0
; COMPUTE_PGM_RSRC2:TGID_X_EN: 1
; COMPUTE_PGM_RSRC2:TGID_Y_EN: 0
; COMPUTE_PGM_RSRC2:TGID_Z_EN: 0
; COMPUTE_PGM_RSRC2:TIDIG_COMP_CNT: 0
	.section	.text._ZN9rocsparseL17doti_kernel_part1ILj256ELj2Ei18rocsparse_bfloat16S1_fEEvT1_PKT2_PKS2_PKT3_PT4_21rocsparse_index_base_,"axG",@progbits,_ZN9rocsparseL17doti_kernel_part1ILj256ELj2Ei18rocsparse_bfloat16S1_fEEvT1_PKT2_PKS2_PKT3_PT4_21rocsparse_index_base_,comdat
	.globl	_ZN9rocsparseL17doti_kernel_part1ILj256ELj2Ei18rocsparse_bfloat16S1_fEEvT1_PKT2_PKS2_PKT3_PT4_21rocsparse_index_base_ ; -- Begin function _ZN9rocsparseL17doti_kernel_part1ILj256ELj2Ei18rocsparse_bfloat16S1_fEEvT1_PKT2_PKS2_PKT3_PT4_21rocsparse_index_base_
	.p2align	8
	.type	_ZN9rocsparseL17doti_kernel_part1ILj256ELj2Ei18rocsparse_bfloat16S1_fEEvT1_PKT2_PKS2_PKT3_PT4_21rocsparse_index_base_,@function
_ZN9rocsparseL17doti_kernel_part1ILj256ELj2Ei18rocsparse_bfloat16S1_fEEvT1_PKT2_PKS2_PKT3_PT4_21rocsparse_index_base_: ; @_ZN9rocsparseL17doti_kernel_part1ILj256ELj2Ei18rocsparse_bfloat16S1_fEEvT1_PKT2_PKS2_PKT3_PT4_21rocsparse_index_base_
; %bb.0:
	s_clause 0x3
	s_load_dword s2, s[4:5], 0x30
	s_load_dword s0, s[4:5], 0x0
	;; [unrolled: 1-line block ×3, first 2 shown]
	s_load_dwordx8 s[8:15], s[4:5], 0x8
	v_mov_b32_e32 v3, 0
	s_waitcnt lgkmcnt(0)
	s_lshl_b32 s3, s2, 9
	s_cmp_ge_i32 s3, s0
	s_mov_b32 s5, s3
	s_cbranch_scc1 .LBB17_3
; %bb.1:
	v_lshl_or_b32 v4, s6, 9, v0
	v_mov_b32_e32 v2, 0
	v_mov_b32_e32 v3, 0
	s_mov_b32 s4, 0
.LBB17_2:                               ; =>This Inner Loop Header: Depth=1
	v_add_nc_u32_e32 v1, s4, v4
	s_add_i32 s4, s4, s3
	s_add_i32 s5, s3, s4
	s_cmp_lt_i32 s5, s0
	v_lshlrev_b64 v[5:6], 2, v[1:2]
	v_lshlrev_b64 v[7:8], 1, v[1:2]
	v_add_nc_u32_e32 v1, 0x100, v1
	v_add_co_u32 v5, vcc_lo, s10, v5
	v_lshlrev_b64 v[9:10], 2, v[1:2]
	v_add_co_ci_u32_e64 v6, null, s11, v6, vcc_lo
	v_add_co_u32 v9, vcc_lo, s10, v9
	v_add_co_ci_u32_e64 v10, null, s11, v10, vcc_lo
	s_clause 0x1
	global_load_dword v11, v[5:6], off
	global_load_dword v9, v[9:10], off
	v_add_co_u32 v7, vcc_lo, s8, v7
	v_add_co_ci_u32_e64 v8, null, s9, v8, vcc_lo
	v_lshlrev_b64 v[5:6], 1, v[1:2]
	global_load_ushort v1, v[7:8], off
	v_add_co_u32 v5, vcc_lo, s8, v5
	v_add_co_ci_u32_e64 v6, null, s9, v6, vcc_lo
	s_waitcnt vmcnt(2)
	v_subrev_nc_u32_e32 v7, s1, v11
	s_waitcnt vmcnt(1)
	v_subrev_nc_u32_e32 v9, s1, v9
	v_ashrrev_i32_e32 v8, 31, v7
	v_ashrrev_i32_e32 v10, 31, v9
	s_waitcnt vmcnt(0)
	v_lshlrev_b32_e32 v1, 16, v1
	v_lshlrev_b64 v[7:8], 1, v[7:8]
	v_lshlrev_b64 v[9:10], 1, v[9:10]
	v_add_co_u32 v7, vcc_lo, s12, v7
	v_add_co_ci_u32_e64 v8, null, s13, v8, vcc_lo
	global_load_ushort v11, v[7:8], off
	v_add_co_u32 v7, vcc_lo, s12, v9
	v_add_co_ci_u32_e64 v8, null, s13, v10, vcc_lo
	global_load_ushort v5, v[5:6], off
	global_load_ushort v6, v[7:8], off
	s_waitcnt vmcnt(2)
	v_lshlrev_b32_e32 v7, 16, v11
	v_fmac_f32_e32 v3, v7, v1
	s_waitcnt vmcnt(1)
	v_lshlrev_b32_e32 v5, 16, v5
	s_waitcnt vmcnt(0)
	v_lshlrev_b32_e32 v1, 16, v6
	v_fmac_f32_e32 v3, v1, v5
	s_cbranch_scc1 .LBB17_2
.LBB17_3:
	v_lshl_or_b32 v1, s6, 8, v0
	v_subrev_nc_u32_e32 v1, s3, v1
	s_mov_b32 s3, exec_lo
	v_add_nc_u32_e32 v1, s5, v1
	v_cmpx_gt_i32_e64 s0, v1
	s_cbranch_execz .LBB17_7
; %bb.4:
	s_lshl_b32 s4, s2, 8
	s_mov_b32 s2, 0
	s_inst_prefetch 0x1
	.p2align	6
.LBB17_5:                               ; =>This Inner Loop Header: Depth=1
	v_ashrrev_i32_e32 v2, 31, v1
	v_lshlrev_b64 v[4:5], 2, v[1:2]
	v_lshlrev_b64 v[6:7], 1, v[1:2]
	v_add_nc_u32_e32 v1, s4, v1
	v_add_co_u32 v4, vcc_lo, s10, v4
	v_add_co_ci_u32_e64 v5, null, s11, v5, vcc_lo
	global_load_dword v4, v[4:5], off
	s_waitcnt vmcnt(0)
	v_subrev_nc_u32_e32 v4, s1, v4
	v_ashrrev_i32_e32 v5, 31, v4
	v_lshlrev_b64 v[4:5], 1, v[4:5]
	v_add_co_u32 v4, vcc_lo, s12, v4
	v_add_co_ci_u32_e64 v5, null, s13, v5, vcc_lo
	v_add_co_u32 v6, vcc_lo, s8, v6
	v_add_co_ci_u32_e64 v7, null, s9, v7, vcc_lo
	global_load_ushort v2, v[4:5], off
	global_load_ushort v4, v[6:7], off
	v_cmp_le_i32_e32 vcc_lo, s0, v1
	s_or_b32 s2, vcc_lo, s2
	s_waitcnt vmcnt(1)
	v_lshlrev_b32_e32 v2, 16, v2
	s_waitcnt vmcnt(0)
	v_lshlrev_b32_e32 v4, 16, v4
	v_fmac_f32_e32 v3, v2, v4
	s_andn2_b32 exec_lo, exec_lo, s2
	s_cbranch_execnz .LBB17_5
; %bb.6:
	s_inst_prefetch 0x2
	s_or_b32 exec_lo, exec_lo, s2
.LBB17_7:
	s_or_b32 exec_lo, exec_lo, s3
	v_lshlrev_b32_e32 v1, 2, v0
	s_mov_b32 s0, exec_lo
	ds_write_b32 v1, v3
	s_waitcnt lgkmcnt(0)
	s_barrier
	buffer_gl0_inv
	v_cmpx_gt_u32_e32 0x80, v0
	s_cbranch_execz .LBB17_9
; %bb.8:
	ds_read2st64_b32 v[2:3], v1 offset1:2
	s_waitcnt lgkmcnt(0)
	v_add_f32_e32 v2, v2, v3
	ds_write_b32 v1, v2
.LBB17_9:
	s_or_b32 exec_lo, exec_lo, s0
	s_mov_b32 s0, exec_lo
	s_waitcnt lgkmcnt(0)
	s_barrier
	buffer_gl0_inv
	v_cmpx_gt_u32_e32 64, v0
	s_cbranch_execz .LBB17_11
; %bb.10:
	ds_read2st64_b32 v[2:3], v1 offset1:1
	s_waitcnt lgkmcnt(0)
	v_add_f32_e32 v2, v2, v3
	ds_write_b32 v1, v2
.LBB17_11:
	s_or_b32 exec_lo, exec_lo, s0
	s_mov_b32 s0, exec_lo
	s_waitcnt lgkmcnt(0)
	s_barrier
	buffer_gl0_inv
	v_cmpx_gt_u32_e32 32, v0
	s_cbranch_execz .LBB17_13
; %bb.12:
	ds_read2_b32 v[2:3], v1 offset1:32
	s_waitcnt lgkmcnt(0)
	v_add_f32_e32 v2, v2, v3
	ds_write_b32 v1, v2
.LBB17_13:
	s_or_b32 exec_lo, exec_lo, s0
	s_mov_b32 s0, exec_lo
	s_waitcnt lgkmcnt(0)
	s_barrier
	buffer_gl0_inv
	v_cmpx_gt_u32_e32 16, v0
	s_cbranch_execz .LBB17_15
; %bb.14:
	ds_read2_b32 v[2:3], v1 offset1:16
	s_waitcnt lgkmcnt(0)
	v_add_f32_e32 v2, v2, v3
	ds_write_b32 v1, v2
.LBB17_15:
	;; [unrolled: 13-line block ×5, first 2 shown]
	s_or_b32 exec_lo, exec_lo, s0
	v_cmp_eq_u32_e32 vcc_lo, 0, v0
	s_waitcnt lgkmcnt(0)
	s_barrier
	buffer_gl0_inv
	s_and_saveexec_b32 s0, vcc_lo
	s_cbranch_execz .LBB17_23
; %bb.22:
	v_mov_b32_e32 v2, 0
	ds_read_b64 v[0:1], v2
	s_waitcnt lgkmcnt(0)
	v_add_f32_e32 v0, v0, v1
	ds_write_b32 v2, v0
.LBB17_23:
	s_or_b32 exec_lo, exec_lo, s0
	s_waitcnt lgkmcnt(0)
	s_barrier
	buffer_gl0_inv
	s_and_saveexec_b32 s0, vcc_lo
	s_cbranch_execz .LBB17_25
; %bb.24:
	v_mov_b32_e32 v0, 0
	s_mov_b32 s7, 0
	s_lshl_b64 s[0:1], s[6:7], 2
	s_add_u32 s0, s14, s0
	ds_read_b32 v1, v0
	s_addc_u32 s1, s15, s1
	s_waitcnt lgkmcnt(0)
	global_store_dword v0, v1, s[0:1]
.LBB17_25:
	s_endpgm
	.section	.rodata,"a",@progbits
	.p2align	6, 0x0
	.amdhsa_kernel _ZN9rocsparseL17doti_kernel_part1ILj256ELj2Ei18rocsparse_bfloat16S1_fEEvT1_PKT2_PKS2_PKT3_PT4_21rocsparse_index_base_
		.amdhsa_group_segment_fixed_size 1024
		.amdhsa_private_segment_fixed_size 0
		.amdhsa_kernarg_size 304
		.amdhsa_user_sgpr_count 6
		.amdhsa_user_sgpr_private_segment_buffer 1
		.amdhsa_user_sgpr_dispatch_ptr 0
		.amdhsa_user_sgpr_queue_ptr 0
		.amdhsa_user_sgpr_kernarg_segment_ptr 1
		.amdhsa_user_sgpr_dispatch_id 0
		.amdhsa_user_sgpr_flat_scratch_init 0
		.amdhsa_user_sgpr_private_segment_size 0
		.amdhsa_wavefront_size32 1
		.amdhsa_uses_dynamic_stack 0
		.amdhsa_system_sgpr_private_segment_wavefront_offset 0
		.amdhsa_system_sgpr_workgroup_id_x 1
		.amdhsa_system_sgpr_workgroup_id_y 0
		.amdhsa_system_sgpr_workgroup_id_z 0
		.amdhsa_system_sgpr_workgroup_info 0
		.amdhsa_system_vgpr_workitem_id 0
		.amdhsa_next_free_vgpr 12
		.amdhsa_next_free_sgpr 16
		.amdhsa_reserve_vcc 1
		.amdhsa_reserve_flat_scratch 0
		.amdhsa_float_round_mode_32 0
		.amdhsa_float_round_mode_16_64 0
		.amdhsa_float_denorm_mode_32 3
		.amdhsa_float_denorm_mode_16_64 3
		.amdhsa_dx10_clamp 1
		.amdhsa_ieee_mode 1
		.amdhsa_fp16_overflow 0
		.amdhsa_workgroup_processor_mode 1
		.amdhsa_memory_ordered 1
		.amdhsa_forward_progress 1
		.amdhsa_shared_vgpr_count 0
		.amdhsa_exception_fp_ieee_invalid_op 0
		.amdhsa_exception_fp_denorm_src 0
		.amdhsa_exception_fp_ieee_div_zero 0
		.amdhsa_exception_fp_ieee_overflow 0
		.amdhsa_exception_fp_ieee_underflow 0
		.amdhsa_exception_fp_ieee_inexact 0
		.amdhsa_exception_int_div_zero 0
	.end_amdhsa_kernel
	.section	.text._ZN9rocsparseL17doti_kernel_part1ILj256ELj2Ei18rocsparse_bfloat16S1_fEEvT1_PKT2_PKS2_PKT3_PT4_21rocsparse_index_base_,"axG",@progbits,_ZN9rocsparseL17doti_kernel_part1ILj256ELj2Ei18rocsparse_bfloat16S1_fEEvT1_PKT2_PKS2_PKT3_PT4_21rocsparse_index_base_,comdat
.Lfunc_end17:
	.size	_ZN9rocsparseL17doti_kernel_part1ILj256ELj2Ei18rocsparse_bfloat16S1_fEEvT1_PKT2_PKS2_PKT3_PT4_21rocsparse_index_base_, .Lfunc_end17-_ZN9rocsparseL17doti_kernel_part1ILj256ELj2Ei18rocsparse_bfloat16S1_fEEvT1_PKT2_PKS2_PKT3_PT4_21rocsparse_index_base_
                                        ; -- End function
	.set _ZN9rocsparseL17doti_kernel_part1ILj256ELj2Ei18rocsparse_bfloat16S1_fEEvT1_PKT2_PKS2_PKT3_PT4_21rocsparse_index_base_.num_vgpr, 12
	.set _ZN9rocsparseL17doti_kernel_part1ILj256ELj2Ei18rocsparse_bfloat16S1_fEEvT1_PKT2_PKS2_PKT3_PT4_21rocsparse_index_base_.num_agpr, 0
	.set _ZN9rocsparseL17doti_kernel_part1ILj256ELj2Ei18rocsparse_bfloat16S1_fEEvT1_PKT2_PKS2_PKT3_PT4_21rocsparse_index_base_.numbered_sgpr, 16
	.set _ZN9rocsparseL17doti_kernel_part1ILj256ELj2Ei18rocsparse_bfloat16S1_fEEvT1_PKT2_PKS2_PKT3_PT4_21rocsparse_index_base_.num_named_barrier, 0
	.set _ZN9rocsparseL17doti_kernel_part1ILj256ELj2Ei18rocsparse_bfloat16S1_fEEvT1_PKT2_PKS2_PKT3_PT4_21rocsparse_index_base_.private_seg_size, 0
	.set _ZN9rocsparseL17doti_kernel_part1ILj256ELj2Ei18rocsparse_bfloat16S1_fEEvT1_PKT2_PKS2_PKT3_PT4_21rocsparse_index_base_.uses_vcc, 1
	.set _ZN9rocsparseL17doti_kernel_part1ILj256ELj2Ei18rocsparse_bfloat16S1_fEEvT1_PKT2_PKS2_PKT3_PT4_21rocsparse_index_base_.uses_flat_scratch, 0
	.set _ZN9rocsparseL17doti_kernel_part1ILj256ELj2Ei18rocsparse_bfloat16S1_fEEvT1_PKT2_PKS2_PKT3_PT4_21rocsparse_index_base_.has_dyn_sized_stack, 0
	.set _ZN9rocsparseL17doti_kernel_part1ILj256ELj2Ei18rocsparse_bfloat16S1_fEEvT1_PKT2_PKS2_PKT3_PT4_21rocsparse_index_base_.has_recursion, 0
	.set _ZN9rocsparseL17doti_kernel_part1ILj256ELj2Ei18rocsparse_bfloat16S1_fEEvT1_PKT2_PKS2_PKT3_PT4_21rocsparse_index_base_.has_indirect_call, 0
	.section	.AMDGPU.csdata,"",@progbits
; Kernel info:
; codeLenInByte = 1148
; TotalNumSgprs: 18
; NumVgprs: 12
; ScratchSize: 0
; MemoryBound: 0
; FloatMode: 240
; IeeeMode: 1
; LDSByteSize: 1024 bytes/workgroup (compile time only)
; SGPRBlocks: 0
; VGPRBlocks: 1
; NumSGPRsForWavesPerEU: 18
; NumVGPRsForWavesPerEU: 12
; Occupancy: 16
; WaveLimiterHint : 1
; COMPUTE_PGM_RSRC2:SCRATCH_EN: 0
; COMPUTE_PGM_RSRC2:USER_SGPR: 6
; COMPUTE_PGM_RSRC2:TRAP_HANDLER: 0
; COMPUTE_PGM_RSRC2:TGID_X_EN: 1
; COMPUTE_PGM_RSRC2:TGID_Y_EN: 0
; COMPUTE_PGM_RSRC2:TGID_Z_EN: 0
; COMPUTE_PGM_RSRC2:TIDIG_COMP_CNT: 0
	.section	.text._ZN9rocsparseL17doti_kernel_part1ILj256ELj2El18rocsparse_bfloat16S1_fEEvT1_PKT2_PKS2_PKT3_PT4_21rocsparse_index_base_,"axG",@progbits,_ZN9rocsparseL17doti_kernel_part1ILj256ELj2El18rocsparse_bfloat16S1_fEEvT1_PKT2_PKS2_PKT3_PT4_21rocsparse_index_base_,comdat
	.globl	_ZN9rocsparseL17doti_kernel_part1ILj256ELj2El18rocsparse_bfloat16S1_fEEvT1_PKT2_PKS2_PKT3_PT4_21rocsparse_index_base_ ; -- Begin function _ZN9rocsparseL17doti_kernel_part1ILj256ELj2El18rocsparse_bfloat16S1_fEEvT1_PKT2_PKS2_PKT3_PT4_21rocsparse_index_base_
	.p2align	8
	.type	_ZN9rocsparseL17doti_kernel_part1ILj256ELj2El18rocsparse_bfloat16S1_fEEvT1_PKT2_PKS2_PKT3_PT4_21rocsparse_index_base_,@function
_ZN9rocsparseL17doti_kernel_part1ILj256ELj2El18rocsparse_bfloat16S1_fEEvT1_PKT2_PKS2_PKT3_PT4_21rocsparse_index_base_: ; @_ZN9rocsparseL17doti_kernel_part1ILj256ELj2El18rocsparse_bfloat16S1_fEEvT1_PKT2_PKS2_PKT3_PT4_21rocsparse_index_base_
; %bb.0:
	s_clause 0x3
	s_load_dword s20, s[4:5], 0x30
	s_load_dwordx8 s[8:15], s[4:5], 0x0
	s_load_dwordx2 s[2:3], s[4:5], 0x20
	s_load_dword s7, s[4:5], 0x28
	s_mov_b32 s1, 0
	s_lshl_b32 s4, s6, 8
	v_mov_b32_e32 v2, 0
	v_or_b32_e32 v7, s4, v0
	s_waitcnt lgkmcnt(0)
	s_lshl_b32 s0, s20, 9
	v_cmp_le_i64_e64 s5, s[8:9], s[0:1]
	s_and_b32 vcc_lo, exec_lo, s5
	s_cbranch_vccnz .LBB18_3
; %bb.1:
	v_add_nc_u32_e32 v1, s4, v7
	v_mov_b32_e32 v2, 0
	s_lshl_b64 s[16:17], s[0:1], 1
	s_lshl_b64 s[18:19], s[0:1], 3
	s_mov_b64 s[4:5], s[0:1]
	v_lshlrev_b64 v[3:4], 1, v[1:2]
	v_lshlrev_b64 v[5:6], 3, v[1:2]
	v_add_co_u32 v1, vcc_lo, s10, v3
	v_add_co_ci_u32_e64 v4, null, s11, v4, vcc_lo
	v_add_co_u32 v5, vcc_lo, s12, v5
	v_add_co_ci_u32_e64 v6, null, s13, v6, vcc_lo
	;; [unrolled: 2-line block ×4, first 2 shown]
.LBB18_2:                               ; =>This Inner Loop Header: Depth=1
	s_clause 0x1
	global_load_dwordx2 v[8:9], v[5:6], off offset:-2048
	global_load_dwordx2 v[10:11], v[5:6], off
	global_load_ushort v1, v[3:4], off offset:-512
	s_add_u32 s4, s4, s0
	s_addc_u32 s5, s5, 0
	v_cmp_lt_i64_e64 s1, s[4:5], s[8:9]
	s_waitcnt vmcnt(2)
	v_sub_co_u32 v8, vcc_lo, v8, s7
	v_subrev_co_ci_u32_e64 v9, null, 0, v9, vcc_lo
	s_waitcnt vmcnt(1)
	v_sub_co_u32 v10, vcc_lo, v10, s7
	v_subrev_co_ci_u32_e64 v11, null, 0, v11, vcc_lo
	v_lshlrev_b64 v[8:9], 1, v[8:9]
	s_waitcnt vmcnt(0)
	v_lshlrev_b32_e32 v1, 16, v1
	v_lshlrev_b64 v[10:11], 1, v[10:11]
	v_add_co_u32 v8, vcc_lo, s14, v8
	v_add_co_ci_u32_e64 v9, null, s15, v9, vcc_lo
	v_add_co_u32 v10, vcc_lo, s14, v10
	v_add_co_ci_u32_e64 v11, null, s15, v11, vcc_lo
	global_load_ushort v8, v[8:9], off
	global_load_ushort v9, v[3:4], off
	;; [unrolled: 1-line block ×3, first 2 shown]
	v_add_co_u32 v3, vcc_lo, v3, s16
	v_add_co_ci_u32_e64 v4, null, s17, v4, vcc_lo
	v_add_co_u32 v5, vcc_lo, v5, s18
	v_add_co_ci_u32_e64 v6, null, s19, v6, vcc_lo
	s_and_b32 vcc_lo, exec_lo, s1
	s_waitcnt vmcnt(2)
	v_lshlrev_b32_e32 v8, 16, v8
	s_waitcnt vmcnt(1)
	v_lshlrev_b32_e32 v9, 16, v9
	;; [unrolled: 2-line block ×3, first 2 shown]
	v_fmac_f32_e32 v2, v8, v1
	v_fmac_f32_e32 v2, v10, v9
	s_cbranch_vccnz .LBB18_2
	s_branch .LBB18_4
.LBB18_3:
	s_mov_b64 s[4:5], s[0:1]
.LBB18_4:
	v_sub_co_u32 v1, s0, v7, s0
	v_sub_co_ci_u32_e64 v4, null, 0, 0, s0
	s_mov_b32 s1, exec_lo
	v_add_co_u32 v3, vcc_lo, v1, s4
	v_add_co_ci_u32_e64 v4, null, s5, v4, vcc_lo
	v_cmpx_gt_i64_e64 s[8:9], v[3:4]
	s_cbranch_execz .LBB18_8
; %bb.5:
	v_lshlrev_b64 v[5:6], 1, v[3:4]
	v_lshlrev_b64 v[7:8], 3, v[3:4]
	s_mov_b32 s5, 0
	s_lshl_b32 s4, s20, 8
	v_add_co_u32 v5, vcc_lo, s10, v5
	v_add_co_ci_u32_e64 v6, null, s11, v6, vcc_lo
	v_add_co_u32 v7, vcc_lo, s12, v7
	v_add_co_ci_u32_e64 v8, null, s13, v8, vcc_lo
	s_lshl_b64 s[10:11], s[4:5], 1
	s_lshl_b64 s[12:13], s[4:5], 3
	s_inst_prefetch 0x1
	.p2align	6
.LBB18_6:                               ; =>This Inner Loop Header: Depth=1
	global_load_dwordx2 v[9:10], v[7:8], off
	v_add_co_u32 v7, s0, v7, s12
	v_add_co_ci_u32_e64 v8, null, s13, v8, s0
	s_waitcnt vmcnt(0)
	v_sub_co_u32 v9, vcc_lo, v9, s7
	v_subrev_co_ci_u32_e64 v10, null, 0, v10, vcc_lo
	v_lshlrev_b64 v[9:10], 1, v[9:10]
	v_add_co_u32 v9, vcc_lo, s14, v9
	v_add_co_ci_u32_e64 v10, null, s15, v10, vcc_lo
	v_add_co_u32 v3, vcc_lo, v3, s4
	global_load_ushort v1, v[5:6], off
	global_load_ushort v9, v[9:10], off
	v_add_co_ci_u32_e64 v4, null, 0, v4, vcc_lo
	v_add_co_u32 v5, vcc_lo, v5, s10
	v_add_co_ci_u32_e64 v6, null, s11, v6, vcc_lo
	v_cmp_le_i64_e32 vcc_lo, s[8:9], v[3:4]
	s_or_b32 s5, vcc_lo, s5
	s_waitcnt vmcnt(1)
	v_lshlrev_b32_e32 v1, 16, v1
	s_waitcnt vmcnt(0)
	v_lshlrev_b32_e32 v9, 16, v9
	v_fmac_f32_e32 v2, v9, v1
	s_andn2_b32 exec_lo, exec_lo, s5
	s_cbranch_execnz .LBB18_6
; %bb.7:
	s_inst_prefetch 0x2
	s_or_b32 exec_lo, exec_lo, s5
.LBB18_8:
	s_or_b32 exec_lo, exec_lo, s1
	v_lshlrev_b32_e32 v1, 2, v0
	s_mov_b32 s0, exec_lo
	ds_write_b32 v1, v2
	s_waitcnt lgkmcnt(0)
	s_barrier
	buffer_gl0_inv
	v_cmpx_gt_u32_e32 0x80, v0
	s_cbranch_execz .LBB18_10
; %bb.9:
	ds_read2st64_b32 v[2:3], v1 offset1:2
	s_waitcnt lgkmcnt(0)
	v_add_f32_e32 v2, v2, v3
	ds_write_b32 v1, v2
.LBB18_10:
	s_or_b32 exec_lo, exec_lo, s0
	s_mov_b32 s0, exec_lo
	s_waitcnt lgkmcnt(0)
	s_barrier
	buffer_gl0_inv
	v_cmpx_gt_u32_e32 64, v0
	s_cbranch_execz .LBB18_12
; %bb.11:
	ds_read2st64_b32 v[2:3], v1 offset1:1
	s_waitcnt lgkmcnt(0)
	v_add_f32_e32 v2, v2, v3
	ds_write_b32 v1, v2
.LBB18_12:
	s_or_b32 exec_lo, exec_lo, s0
	s_mov_b32 s0, exec_lo
	s_waitcnt lgkmcnt(0)
	s_barrier
	buffer_gl0_inv
	v_cmpx_gt_u32_e32 32, v0
	s_cbranch_execz .LBB18_14
; %bb.13:
	ds_read2_b32 v[2:3], v1 offset1:32
	s_waitcnt lgkmcnt(0)
	v_add_f32_e32 v2, v2, v3
	ds_write_b32 v1, v2
.LBB18_14:
	s_or_b32 exec_lo, exec_lo, s0
	s_mov_b32 s0, exec_lo
	s_waitcnt lgkmcnt(0)
	s_barrier
	buffer_gl0_inv
	v_cmpx_gt_u32_e32 16, v0
	s_cbranch_execz .LBB18_16
; %bb.15:
	ds_read2_b32 v[2:3], v1 offset1:16
	s_waitcnt lgkmcnt(0)
	v_add_f32_e32 v2, v2, v3
	ds_write_b32 v1, v2
.LBB18_16:
	;; [unrolled: 13-line block ×5, first 2 shown]
	s_or_b32 exec_lo, exec_lo, s0
	v_cmp_eq_u32_e32 vcc_lo, 0, v0
	s_waitcnt lgkmcnt(0)
	s_barrier
	buffer_gl0_inv
	s_and_saveexec_b32 s0, vcc_lo
	s_cbranch_execz .LBB18_24
; %bb.23:
	v_mov_b32_e32 v2, 0
	ds_read_b64 v[0:1], v2
	s_waitcnt lgkmcnt(0)
	v_add_f32_e32 v0, v0, v1
	ds_write_b32 v2, v0
.LBB18_24:
	s_or_b32 exec_lo, exec_lo, s0
	s_waitcnt lgkmcnt(0)
	s_barrier
	buffer_gl0_inv
	s_and_saveexec_b32 s0, vcc_lo
	s_cbranch_execz .LBB18_26
; %bb.25:
	v_mov_b32_e32 v0, 0
	s_mov_b32 s7, 0
	s_lshl_b64 s[0:1], s[6:7], 2
	s_add_u32 s0, s2, s0
	ds_read_b32 v1, v0
	s_addc_u32 s1, s3, s1
	s_waitcnt lgkmcnt(0)
	global_store_dword v0, v1, s[0:1]
.LBB18_26:
	s_endpgm
	.section	.rodata,"a",@progbits
	.p2align	6, 0x0
	.amdhsa_kernel _ZN9rocsparseL17doti_kernel_part1ILj256ELj2El18rocsparse_bfloat16S1_fEEvT1_PKT2_PKS2_PKT3_PT4_21rocsparse_index_base_
		.amdhsa_group_segment_fixed_size 1024
		.amdhsa_private_segment_fixed_size 0
		.amdhsa_kernarg_size 304
		.amdhsa_user_sgpr_count 6
		.amdhsa_user_sgpr_private_segment_buffer 1
		.amdhsa_user_sgpr_dispatch_ptr 0
		.amdhsa_user_sgpr_queue_ptr 0
		.amdhsa_user_sgpr_kernarg_segment_ptr 1
		.amdhsa_user_sgpr_dispatch_id 0
		.amdhsa_user_sgpr_flat_scratch_init 0
		.amdhsa_user_sgpr_private_segment_size 0
		.amdhsa_wavefront_size32 1
		.amdhsa_uses_dynamic_stack 0
		.amdhsa_system_sgpr_private_segment_wavefront_offset 0
		.amdhsa_system_sgpr_workgroup_id_x 1
		.amdhsa_system_sgpr_workgroup_id_y 0
		.amdhsa_system_sgpr_workgroup_id_z 0
		.amdhsa_system_sgpr_workgroup_info 0
		.amdhsa_system_vgpr_workitem_id 0
		.amdhsa_next_free_vgpr 12
		.amdhsa_next_free_sgpr 21
		.amdhsa_reserve_vcc 1
		.amdhsa_reserve_flat_scratch 0
		.amdhsa_float_round_mode_32 0
		.amdhsa_float_round_mode_16_64 0
		.amdhsa_float_denorm_mode_32 3
		.amdhsa_float_denorm_mode_16_64 3
		.amdhsa_dx10_clamp 1
		.amdhsa_ieee_mode 1
		.amdhsa_fp16_overflow 0
		.amdhsa_workgroup_processor_mode 1
		.amdhsa_memory_ordered 1
		.amdhsa_forward_progress 1
		.amdhsa_shared_vgpr_count 0
		.amdhsa_exception_fp_ieee_invalid_op 0
		.amdhsa_exception_fp_denorm_src 0
		.amdhsa_exception_fp_ieee_div_zero 0
		.amdhsa_exception_fp_ieee_overflow 0
		.amdhsa_exception_fp_ieee_underflow 0
		.amdhsa_exception_fp_ieee_inexact 0
		.amdhsa_exception_int_div_zero 0
	.end_amdhsa_kernel
	.section	.text._ZN9rocsparseL17doti_kernel_part1ILj256ELj2El18rocsparse_bfloat16S1_fEEvT1_PKT2_PKS2_PKT3_PT4_21rocsparse_index_base_,"axG",@progbits,_ZN9rocsparseL17doti_kernel_part1ILj256ELj2El18rocsparse_bfloat16S1_fEEvT1_PKT2_PKS2_PKT3_PT4_21rocsparse_index_base_,comdat
.Lfunc_end18:
	.size	_ZN9rocsparseL17doti_kernel_part1ILj256ELj2El18rocsparse_bfloat16S1_fEEvT1_PKT2_PKS2_PKT3_PT4_21rocsparse_index_base_, .Lfunc_end18-_ZN9rocsparseL17doti_kernel_part1ILj256ELj2El18rocsparse_bfloat16S1_fEEvT1_PKT2_PKS2_PKT3_PT4_21rocsparse_index_base_
                                        ; -- End function
	.set _ZN9rocsparseL17doti_kernel_part1ILj256ELj2El18rocsparse_bfloat16S1_fEEvT1_PKT2_PKS2_PKT3_PT4_21rocsparse_index_base_.num_vgpr, 12
	.set _ZN9rocsparseL17doti_kernel_part1ILj256ELj2El18rocsparse_bfloat16S1_fEEvT1_PKT2_PKS2_PKT3_PT4_21rocsparse_index_base_.num_agpr, 0
	.set _ZN9rocsparseL17doti_kernel_part1ILj256ELj2El18rocsparse_bfloat16S1_fEEvT1_PKT2_PKS2_PKT3_PT4_21rocsparse_index_base_.numbered_sgpr, 21
	.set _ZN9rocsparseL17doti_kernel_part1ILj256ELj2El18rocsparse_bfloat16S1_fEEvT1_PKT2_PKS2_PKT3_PT4_21rocsparse_index_base_.num_named_barrier, 0
	.set _ZN9rocsparseL17doti_kernel_part1ILj256ELj2El18rocsparse_bfloat16S1_fEEvT1_PKT2_PKS2_PKT3_PT4_21rocsparse_index_base_.private_seg_size, 0
	.set _ZN9rocsparseL17doti_kernel_part1ILj256ELj2El18rocsparse_bfloat16S1_fEEvT1_PKT2_PKS2_PKT3_PT4_21rocsparse_index_base_.uses_vcc, 1
	.set _ZN9rocsparseL17doti_kernel_part1ILj256ELj2El18rocsparse_bfloat16S1_fEEvT1_PKT2_PKS2_PKT3_PT4_21rocsparse_index_base_.uses_flat_scratch, 0
	.set _ZN9rocsparseL17doti_kernel_part1ILj256ELj2El18rocsparse_bfloat16S1_fEEvT1_PKT2_PKS2_PKT3_PT4_21rocsparse_index_base_.has_dyn_sized_stack, 0
	.set _ZN9rocsparseL17doti_kernel_part1ILj256ELj2El18rocsparse_bfloat16S1_fEEvT1_PKT2_PKS2_PKT3_PT4_21rocsparse_index_base_.has_recursion, 0
	.set _ZN9rocsparseL17doti_kernel_part1ILj256ELj2El18rocsparse_bfloat16S1_fEEvT1_PKT2_PKS2_PKT3_PT4_21rocsparse_index_base_.has_indirect_call, 0
	.section	.AMDGPU.csdata,"",@progbits
; Kernel info:
; codeLenInByte = 1276
; TotalNumSgprs: 23
; NumVgprs: 12
; ScratchSize: 0
; MemoryBound: 0
; FloatMode: 240
; IeeeMode: 1
; LDSByteSize: 1024 bytes/workgroup (compile time only)
; SGPRBlocks: 0
; VGPRBlocks: 1
; NumSGPRsForWavesPerEU: 23
; NumVGPRsForWavesPerEU: 12
; Occupancy: 16
; WaveLimiterHint : 1
; COMPUTE_PGM_RSRC2:SCRATCH_EN: 0
; COMPUTE_PGM_RSRC2:USER_SGPR: 6
; COMPUTE_PGM_RSRC2:TRAP_HANDLER: 0
; COMPUTE_PGM_RSRC2:TGID_X_EN: 1
; COMPUTE_PGM_RSRC2:TGID_Y_EN: 0
; COMPUTE_PGM_RSRC2:TGID_Z_EN: 0
; COMPUTE_PGM_RSRC2:TIDIG_COMP_CNT: 0
	.section	.text._ZN9rocsparseL17doti_kernel_part1ILj256ELj2EiaafEEvT1_PKT2_PKS1_PKT3_PT4_21rocsparse_index_base_,"axG",@progbits,_ZN9rocsparseL17doti_kernel_part1ILj256ELj2EiaafEEvT1_PKT2_PKS1_PKT3_PT4_21rocsparse_index_base_,comdat
	.globl	_ZN9rocsparseL17doti_kernel_part1ILj256ELj2EiaafEEvT1_PKT2_PKS1_PKT3_PT4_21rocsparse_index_base_ ; -- Begin function _ZN9rocsparseL17doti_kernel_part1ILj256ELj2EiaafEEvT1_PKT2_PKS1_PKT3_PT4_21rocsparse_index_base_
	.p2align	8
	.type	_ZN9rocsparseL17doti_kernel_part1ILj256ELj2EiaafEEvT1_PKT2_PKS1_PKT3_PT4_21rocsparse_index_base_,@function
_ZN9rocsparseL17doti_kernel_part1ILj256ELj2EiaafEEvT1_PKT2_PKS1_PKT3_PT4_21rocsparse_index_base_: ; @_ZN9rocsparseL17doti_kernel_part1ILj256ELj2EiaafEEvT1_PKT2_PKS1_PKT3_PT4_21rocsparse_index_base_
; %bb.0:
	s_clause 0x3
	s_load_dword s2, s[4:5], 0x30
	s_load_dword s0, s[4:5], 0x0
	;; [unrolled: 1-line block ×3, first 2 shown]
	s_load_dwordx8 s[8:15], s[4:5], 0x8
	v_mov_b32_e32 v3, 0
	s_waitcnt lgkmcnt(0)
	s_lshl_b32 s3, s2, 9
	s_cmp_ge_i32 s3, s0
	s_mov_b32 s5, s3
	s_cbranch_scc1 .LBB19_3
; %bb.1:
	v_lshl_or_b32 v4, s6, 9, v0
	v_mov_b32_e32 v2, 0
	v_mov_b32_e32 v3, 0
	s_mov_b32 s4, 0
.LBB19_2:                               ; =>This Inner Loop Header: Depth=1
	v_add_nc_u32_e32 v1, s4, v4
	s_add_i32 s4, s4, s3
	s_add_i32 s5, s3, s4
	s_cmp_lt_i32 s5, s0
	v_lshlrev_b64 v[5:6], 2, v[1:2]
	global_load_sbyte v9, v1, s[8:9]
	v_add_nc_u32_e32 v1, 0x100, v1
	v_add_co_u32 v5, vcc_lo, s10, v5
	v_lshlrev_b64 v[7:8], 2, v[1:2]
	v_add_co_ci_u32_e64 v6, null, s11, v6, vcc_lo
	global_load_dword v10, v[5:6], off
	v_add_co_u32 v5, vcc_lo, s10, v7
	v_add_co_ci_u32_e64 v6, null, s11, v8, vcc_lo
	global_load_dword v5, v[5:6], off
	s_waitcnt vmcnt(1)
	v_subrev_nc_u32_e32 v6, s1, v10
	v_ashrrev_i32_e32 v7, 31, v6
	s_waitcnt vmcnt(0)
	v_subrev_nc_u32_e32 v8, s1, v5
	v_add_co_u32 v5, vcc_lo, s12, v6
	v_add_co_ci_u32_e64 v6, null, s13, v7, vcc_lo
	v_ashrrev_i32_e32 v10, 31, v8
	v_add_co_u32 v7, vcc_lo, s12, v8
	global_load_sbyte v5, v[5:6], off
	v_add_co_ci_u32_e64 v8, null, s13, v10, vcc_lo
	global_load_sbyte v1, v1, s[8:9]
	global_load_sbyte v6, v[7:8], off
	v_cvt_f32_i32_e32 v7, v9
	s_waitcnt vmcnt(2)
	v_cvt_f32_i32_e32 v5, v5
	s_waitcnt vmcnt(1)
	v_cvt_f32_i32_e32 v1, v1
	v_fmac_f32_e32 v3, v5, v7
	s_waitcnt vmcnt(0)
	v_cvt_f32_i32_e32 v5, v6
	v_fmac_f32_e32 v3, v5, v1
	s_cbranch_scc1 .LBB19_2
.LBB19_3:
	v_lshl_or_b32 v1, s6, 8, v0
	v_subrev_nc_u32_e32 v1, s3, v1
	s_mov_b32 s3, exec_lo
	v_add_nc_u32_e32 v1, s5, v1
	v_cmpx_gt_i32_e64 s0, v1
	s_cbranch_execz .LBB19_7
; %bb.4:
	s_lshl_b32 s4, s2, 8
	s_mov_b32 s2, 0
	.p2align	6
.LBB19_5:                               ; =>This Inner Loop Header: Depth=1
	v_ashrrev_i32_e32 v2, 31, v1
	v_lshlrev_b64 v[4:5], 2, v[1:2]
	v_add_co_u32 v4, vcc_lo, s10, v4
	v_add_co_ci_u32_e64 v5, null, s11, v5, vcc_lo
	global_load_dword v4, v[4:5], off
	s_waitcnt vmcnt(0)
	v_subrev_nc_u32_e32 v4, s1, v4
	v_ashrrev_i32_e32 v5, 31, v4
	v_add_co_u32 v4, vcc_lo, s12, v4
	v_add_co_ci_u32_e64 v5, null, s13, v5, vcc_lo
	v_add_co_u32 v6, vcc_lo, s8, v1
	v_add_co_ci_u32_e64 v7, null, s9, v2, vcc_lo
	global_load_sbyte v2, v[4:5], off
	global_load_sbyte v4, v[6:7], off
	v_add_nc_u32_e32 v1, s4, v1
	v_cmp_le_i32_e32 vcc_lo, s0, v1
	s_or_b32 s2, vcc_lo, s2
	s_waitcnt vmcnt(1)
	v_cvt_f32_i32_e32 v2, v2
	s_waitcnt vmcnt(0)
	v_cvt_f32_i32_e32 v4, v4
	v_fmac_f32_e32 v3, v2, v4
	s_andn2_b32 exec_lo, exec_lo, s2
	s_cbranch_execnz .LBB19_5
; %bb.6:
	s_or_b32 exec_lo, exec_lo, s2
.LBB19_7:
	s_or_b32 exec_lo, exec_lo, s3
	v_lshlrev_b32_e32 v1, 2, v0
	s_mov_b32 s0, exec_lo
	ds_write_b32 v1, v3
	s_waitcnt lgkmcnt(0)
	s_barrier
	buffer_gl0_inv
	v_cmpx_gt_u32_e32 0x80, v0
	s_cbranch_execz .LBB19_9
; %bb.8:
	ds_read2st64_b32 v[2:3], v1 offset1:2
	s_waitcnt lgkmcnt(0)
	v_add_f32_e32 v2, v2, v3
	ds_write_b32 v1, v2
.LBB19_9:
	s_or_b32 exec_lo, exec_lo, s0
	s_mov_b32 s0, exec_lo
	s_waitcnt lgkmcnt(0)
	s_barrier
	buffer_gl0_inv
	v_cmpx_gt_u32_e32 64, v0
	s_cbranch_execz .LBB19_11
; %bb.10:
	ds_read2st64_b32 v[2:3], v1 offset1:1
	s_waitcnt lgkmcnt(0)
	v_add_f32_e32 v2, v2, v3
	ds_write_b32 v1, v2
.LBB19_11:
	s_or_b32 exec_lo, exec_lo, s0
	s_mov_b32 s0, exec_lo
	s_waitcnt lgkmcnt(0)
	s_barrier
	buffer_gl0_inv
	v_cmpx_gt_u32_e32 32, v0
	s_cbranch_execz .LBB19_13
; %bb.12:
	ds_read2_b32 v[2:3], v1 offset1:32
	s_waitcnt lgkmcnt(0)
	v_add_f32_e32 v2, v2, v3
	ds_write_b32 v1, v2
.LBB19_13:
	s_or_b32 exec_lo, exec_lo, s0
	s_mov_b32 s0, exec_lo
	s_waitcnt lgkmcnt(0)
	s_barrier
	buffer_gl0_inv
	v_cmpx_gt_u32_e32 16, v0
	s_cbranch_execz .LBB19_15
; %bb.14:
	ds_read2_b32 v[2:3], v1 offset1:16
	s_waitcnt lgkmcnt(0)
	v_add_f32_e32 v2, v2, v3
	ds_write_b32 v1, v2
.LBB19_15:
	;; [unrolled: 13-line block ×5, first 2 shown]
	s_or_b32 exec_lo, exec_lo, s0
	v_cmp_eq_u32_e32 vcc_lo, 0, v0
	s_waitcnt lgkmcnt(0)
	s_barrier
	buffer_gl0_inv
	s_and_saveexec_b32 s0, vcc_lo
	s_cbranch_execz .LBB19_23
; %bb.22:
	v_mov_b32_e32 v2, 0
	ds_read_b64 v[0:1], v2
	s_waitcnt lgkmcnt(0)
	v_add_f32_e32 v0, v0, v1
	ds_write_b32 v2, v0
.LBB19_23:
	s_or_b32 exec_lo, exec_lo, s0
	s_waitcnt lgkmcnt(0)
	s_barrier
	buffer_gl0_inv
	s_and_saveexec_b32 s0, vcc_lo
	s_cbranch_execz .LBB19_25
; %bb.24:
	v_mov_b32_e32 v0, 0
	s_mov_b32 s7, 0
	s_lshl_b64 s[0:1], s[6:7], 2
	s_add_u32 s0, s14, s0
	ds_read_b32 v1, v0
	s_addc_u32 s1, s15, s1
	s_waitcnt lgkmcnt(0)
	global_store_dword v0, v1, s[0:1]
.LBB19_25:
	s_endpgm
	.section	.rodata,"a",@progbits
	.p2align	6, 0x0
	.amdhsa_kernel _ZN9rocsparseL17doti_kernel_part1ILj256ELj2EiaafEEvT1_PKT2_PKS1_PKT3_PT4_21rocsparse_index_base_
		.amdhsa_group_segment_fixed_size 1024
		.amdhsa_private_segment_fixed_size 0
		.amdhsa_kernarg_size 304
		.amdhsa_user_sgpr_count 6
		.amdhsa_user_sgpr_private_segment_buffer 1
		.amdhsa_user_sgpr_dispatch_ptr 0
		.amdhsa_user_sgpr_queue_ptr 0
		.amdhsa_user_sgpr_kernarg_segment_ptr 1
		.amdhsa_user_sgpr_dispatch_id 0
		.amdhsa_user_sgpr_flat_scratch_init 0
		.amdhsa_user_sgpr_private_segment_size 0
		.amdhsa_wavefront_size32 1
		.amdhsa_uses_dynamic_stack 0
		.amdhsa_system_sgpr_private_segment_wavefront_offset 0
		.amdhsa_system_sgpr_workgroup_id_x 1
		.amdhsa_system_sgpr_workgroup_id_y 0
		.amdhsa_system_sgpr_workgroup_id_z 0
		.amdhsa_system_sgpr_workgroup_info 0
		.amdhsa_system_vgpr_workitem_id 0
		.amdhsa_next_free_vgpr 11
		.amdhsa_next_free_sgpr 16
		.amdhsa_reserve_vcc 1
		.amdhsa_reserve_flat_scratch 0
		.amdhsa_float_round_mode_32 0
		.amdhsa_float_round_mode_16_64 0
		.amdhsa_float_denorm_mode_32 3
		.amdhsa_float_denorm_mode_16_64 3
		.amdhsa_dx10_clamp 1
		.amdhsa_ieee_mode 1
		.amdhsa_fp16_overflow 0
		.amdhsa_workgroup_processor_mode 1
		.amdhsa_memory_ordered 1
		.amdhsa_forward_progress 1
		.amdhsa_shared_vgpr_count 0
		.amdhsa_exception_fp_ieee_invalid_op 0
		.amdhsa_exception_fp_denorm_src 0
		.amdhsa_exception_fp_ieee_div_zero 0
		.amdhsa_exception_fp_ieee_overflow 0
		.amdhsa_exception_fp_ieee_underflow 0
		.amdhsa_exception_fp_ieee_inexact 0
		.amdhsa_exception_int_div_zero 0
	.end_amdhsa_kernel
	.section	.text._ZN9rocsparseL17doti_kernel_part1ILj256ELj2EiaafEEvT1_PKT2_PKS1_PKT3_PT4_21rocsparse_index_base_,"axG",@progbits,_ZN9rocsparseL17doti_kernel_part1ILj256ELj2EiaafEEvT1_PKT2_PKS1_PKT3_PT4_21rocsparse_index_base_,comdat
.Lfunc_end19:
	.size	_ZN9rocsparseL17doti_kernel_part1ILj256ELj2EiaafEEvT1_PKT2_PKS1_PKT3_PT4_21rocsparse_index_base_, .Lfunc_end19-_ZN9rocsparseL17doti_kernel_part1ILj256ELj2EiaafEEvT1_PKT2_PKS1_PKT3_PT4_21rocsparse_index_base_
                                        ; -- End function
	.set _ZN9rocsparseL17doti_kernel_part1ILj256ELj2EiaafEEvT1_PKT2_PKS1_PKT3_PT4_21rocsparse_index_base_.num_vgpr, 11
	.set _ZN9rocsparseL17doti_kernel_part1ILj256ELj2EiaafEEvT1_PKT2_PKS1_PKT3_PT4_21rocsparse_index_base_.num_agpr, 0
	.set _ZN9rocsparseL17doti_kernel_part1ILj256ELj2EiaafEEvT1_PKT2_PKS1_PKT3_PT4_21rocsparse_index_base_.numbered_sgpr, 16
	.set _ZN9rocsparseL17doti_kernel_part1ILj256ELj2EiaafEEvT1_PKT2_PKS1_PKT3_PT4_21rocsparse_index_base_.num_named_barrier, 0
	.set _ZN9rocsparseL17doti_kernel_part1ILj256ELj2EiaafEEvT1_PKT2_PKS1_PKT3_PT4_21rocsparse_index_base_.private_seg_size, 0
	.set _ZN9rocsparseL17doti_kernel_part1ILj256ELj2EiaafEEvT1_PKT2_PKS1_PKT3_PT4_21rocsparse_index_base_.uses_vcc, 1
	.set _ZN9rocsparseL17doti_kernel_part1ILj256ELj2EiaafEEvT1_PKT2_PKS1_PKT3_PT4_21rocsparse_index_base_.uses_flat_scratch, 0
	.set _ZN9rocsparseL17doti_kernel_part1ILj256ELj2EiaafEEvT1_PKT2_PKS1_PKT3_PT4_21rocsparse_index_base_.has_dyn_sized_stack, 0
	.set _ZN9rocsparseL17doti_kernel_part1ILj256ELj2EiaafEEvT1_PKT2_PKS1_PKT3_PT4_21rocsparse_index_base_.has_recursion, 0
	.set _ZN9rocsparseL17doti_kernel_part1ILj256ELj2EiaafEEvT1_PKT2_PKS1_PKT3_PT4_21rocsparse_index_base_.has_indirect_call, 0
	.section	.AMDGPU.csdata,"",@progbits
; Kernel info:
; codeLenInByte = 1064
; TotalNumSgprs: 18
; NumVgprs: 11
; ScratchSize: 0
; MemoryBound: 0
; FloatMode: 240
; IeeeMode: 1
; LDSByteSize: 1024 bytes/workgroup (compile time only)
; SGPRBlocks: 0
; VGPRBlocks: 1
; NumSGPRsForWavesPerEU: 18
; NumVGPRsForWavesPerEU: 11
; Occupancy: 16
; WaveLimiterHint : 1
; COMPUTE_PGM_RSRC2:SCRATCH_EN: 0
; COMPUTE_PGM_RSRC2:USER_SGPR: 6
; COMPUTE_PGM_RSRC2:TRAP_HANDLER: 0
; COMPUTE_PGM_RSRC2:TGID_X_EN: 1
; COMPUTE_PGM_RSRC2:TGID_Y_EN: 0
; COMPUTE_PGM_RSRC2:TGID_Z_EN: 0
; COMPUTE_PGM_RSRC2:TIDIG_COMP_CNT: 0
	.section	.text._ZN9rocsparseL17doti_kernel_part1ILj256ELj2ElaafEEvT1_PKT2_PKS1_PKT3_PT4_21rocsparse_index_base_,"axG",@progbits,_ZN9rocsparseL17doti_kernel_part1ILj256ELj2ElaafEEvT1_PKT2_PKS1_PKT3_PT4_21rocsparse_index_base_,comdat
	.globl	_ZN9rocsparseL17doti_kernel_part1ILj256ELj2ElaafEEvT1_PKT2_PKS1_PKT3_PT4_21rocsparse_index_base_ ; -- Begin function _ZN9rocsparseL17doti_kernel_part1ILj256ELj2ElaafEEvT1_PKT2_PKS1_PKT3_PT4_21rocsparse_index_base_
	.p2align	8
	.type	_ZN9rocsparseL17doti_kernel_part1ILj256ELj2ElaafEEvT1_PKT2_PKS1_PKT3_PT4_21rocsparse_index_base_,@function
_ZN9rocsparseL17doti_kernel_part1ILj256ELj2ElaafEEvT1_PKT2_PKS1_PKT3_PT4_21rocsparse_index_base_: ; @_ZN9rocsparseL17doti_kernel_part1ILj256ELj2ElaafEEvT1_PKT2_PKS1_PKT3_PT4_21rocsparse_index_base_
; %bb.0:
	s_clause 0x3
	s_load_dword s20, s[4:5], 0x30
	s_load_dwordx8 s[8:15], s[4:5], 0x0
	s_load_dwordx2 s[2:3], s[4:5], 0x20
	s_load_dword s7, s[4:5], 0x28
	s_mov_b32 s1, 0
	s_lshl_b32 s4, s6, 8
	v_mov_b32_e32 v2, 0
	v_or_b32_e32 v5, s4, v0
	s_waitcnt lgkmcnt(0)
	s_lshl_b32 s0, s20, 9
	v_cmp_le_i64_e64 s5, s[8:9], s[0:1]
	s_mov_b64 s[18:19], s[0:1]
	s_and_b32 vcc_lo, exec_lo, s5
	s_cbranch_vccnz .LBB20_3
; %bb.1:
	v_add_nc_u32_e32 v1, s4, v5
	v_mov_b32_e32 v2, 0
	s_mov_b64 s[16:17], 0
	v_lshlrev_b64 v[3:4], 3, v[1:2]
	v_add_co_u32 v1, s4, s10, v1
	v_add_co_ci_u32_e64 v6, null, s11, 0, s4
	s_lshl_b64 s[4:5], s[0:1], 3
	v_add_co_u32 v3, vcc_lo, s12, v3
	v_add_co_ci_u32_e64 v4, null, s13, v4, vcc_lo
	v_add_co_u32 v3, vcc_lo, 0x800, v3
	v_add_co_ci_u32_e64 v4, null, 0, v4, vcc_lo
.LBB20_2:                               ; =>This Inner Loop Header: Depth=1
	s_clause 0x1
	global_load_dwordx2 v[7:8], v[3:4], off offset:-2048
	global_load_dwordx2 v[9:10], v[3:4], off
	v_add_co_u32 v11, vcc_lo, v1, s16
	v_add_co_ci_u32_e64 v12, null, s17, v6, vcc_lo
	s_add_u32 s16, s16, s0
	s_addc_u32 s17, s17, 0
	s_add_u32 s18, s0, s16
	global_load_sbyte v13, v[11:12], off
	s_addc_u32 s19, 0, s17
	v_cmp_lt_i64_e64 s1, s[18:19], s[8:9]
	s_waitcnt vmcnt(2)
	v_sub_co_u32 v7, vcc_lo, v7, s7
	v_subrev_co_ci_u32_e64 v8, null, 0, v8, vcc_lo
	s_waitcnt vmcnt(1)
	v_sub_co_u32 v9, vcc_lo, v9, s7
	v_subrev_co_ci_u32_e64 v10, null, 0, v10, vcc_lo
	v_add_co_u32 v7, vcc_lo, s14, v7
	v_add_co_ci_u32_e64 v8, null, s15, v8, vcc_lo
	v_add_co_u32 v9, vcc_lo, s14, v9
	v_add_co_ci_u32_e64 v10, null, s15, v10, vcc_lo
	global_load_sbyte v7, v[7:8], off
	global_load_sbyte v8, v[11:12], off offset:256
	global_load_sbyte v9, v[9:10], off
	s_waitcnt vmcnt(3)
	v_cvt_f32_i32_e32 v10, v13
	v_add_co_u32 v3, vcc_lo, v3, s4
	v_add_co_ci_u32_e64 v4, null, s5, v4, vcc_lo
	s_and_b32 vcc_lo, exec_lo, s1
	s_waitcnt vmcnt(2)
	v_cvt_f32_i32_e32 v7, v7
	s_waitcnt vmcnt(1)
	v_cvt_f32_i32_e32 v8, v8
	;; [unrolled: 2-line block ×3, first 2 shown]
	v_fmac_f32_e32 v2, v7, v10
	v_fmac_f32_e32 v2, v9, v8
	s_cbranch_vccnz .LBB20_2
.LBB20_3:
	v_sub_co_u32 v1, s0, v5, s0
	v_sub_co_ci_u32_e64 v4, null, 0, 0, s0
	s_mov_b32 s1, exec_lo
	v_add_co_u32 v3, vcc_lo, v1, s18
	v_add_co_ci_u32_e64 v4, null, s19, v4, vcc_lo
	v_cmpx_gt_i64_e64 s[8:9], v[3:4]
	s_cbranch_execz .LBB20_7
; %bb.4:
	v_lshlrev_b64 v[5:6], 3, v[3:4]
	s_mov_b32 s5, 0
	s_lshl_b32 s4, s20, 8
	v_add_co_u32 v5, vcc_lo, s12, v5
	v_add_co_ci_u32_e64 v6, null, s13, v6, vcc_lo
	s_lshl_b64 s[12:13], s[4:5], 3
	s_inst_prefetch 0x1
	.p2align	6
.LBB20_5:                               ; =>This Inner Loop Header: Depth=1
	global_load_dwordx2 v[7:8], v[5:6], off
	v_add_co_u32 v9, vcc_lo, s10, v3
	v_add_co_ci_u32_e64 v10, null, s11, v4, vcc_lo
	s_waitcnt vmcnt(0)
	v_sub_co_u32 v1, s0, v7, s7
	v_subrev_co_ci_u32_e64 v8, null, 0, v8, s0
	v_add_co_u32 v5, s0, v5, s12
	v_add_co_u32 v7, vcc_lo, s14, v1
	v_add_co_ci_u32_e64 v8, null, s15, v8, vcc_lo
	v_add_co_u32 v3, vcc_lo, v3, s4
	global_load_sbyte v1, v[9:10], off
	global_load_sbyte v7, v[7:8], off
	v_add_co_ci_u32_e64 v4, null, 0, v4, vcc_lo
	v_add_co_ci_u32_e64 v6, null, s13, v6, s0
	v_cmp_le_i64_e32 vcc_lo, s[8:9], v[3:4]
	s_or_b32 s5, vcc_lo, s5
	s_waitcnt vmcnt(1)
	v_cvt_f32_i32_e32 v1, v1
	s_waitcnt vmcnt(0)
	v_cvt_f32_i32_e32 v7, v7
	v_fmac_f32_e32 v2, v7, v1
	s_andn2_b32 exec_lo, exec_lo, s5
	s_cbranch_execnz .LBB20_5
; %bb.6:
	s_inst_prefetch 0x2
	s_or_b32 exec_lo, exec_lo, s5
.LBB20_7:
	s_or_b32 exec_lo, exec_lo, s1
	v_lshlrev_b32_e32 v1, 2, v0
	s_mov_b32 s0, exec_lo
	ds_write_b32 v1, v2
	s_waitcnt lgkmcnt(0)
	s_barrier
	buffer_gl0_inv
	v_cmpx_gt_u32_e32 0x80, v0
	s_cbranch_execz .LBB20_9
; %bb.8:
	ds_read2st64_b32 v[2:3], v1 offset1:2
	s_waitcnt lgkmcnt(0)
	v_add_f32_e32 v2, v2, v3
	ds_write_b32 v1, v2
.LBB20_9:
	s_or_b32 exec_lo, exec_lo, s0
	s_mov_b32 s0, exec_lo
	s_waitcnt lgkmcnt(0)
	s_barrier
	buffer_gl0_inv
	v_cmpx_gt_u32_e32 64, v0
	s_cbranch_execz .LBB20_11
; %bb.10:
	ds_read2st64_b32 v[2:3], v1 offset1:1
	s_waitcnt lgkmcnt(0)
	v_add_f32_e32 v2, v2, v3
	ds_write_b32 v1, v2
.LBB20_11:
	s_or_b32 exec_lo, exec_lo, s0
	s_mov_b32 s0, exec_lo
	s_waitcnt lgkmcnt(0)
	s_barrier
	buffer_gl0_inv
	v_cmpx_gt_u32_e32 32, v0
	s_cbranch_execz .LBB20_13
; %bb.12:
	ds_read2_b32 v[2:3], v1 offset1:32
	s_waitcnt lgkmcnt(0)
	v_add_f32_e32 v2, v2, v3
	ds_write_b32 v1, v2
.LBB20_13:
	s_or_b32 exec_lo, exec_lo, s0
	s_mov_b32 s0, exec_lo
	s_waitcnt lgkmcnt(0)
	s_barrier
	buffer_gl0_inv
	v_cmpx_gt_u32_e32 16, v0
	s_cbranch_execz .LBB20_15
; %bb.14:
	ds_read2_b32 v[2:3], v1 offset1:16
	s_waitcnt lgkmcnt(0)
	v_add_f32_e32 v2, v2, v3
	ds_write_b32 v1, v2
.LBB20_15:
	;; [unrolled: 13-line block ×5, first 2 shown]
	s_or_b32 exec_lo, exec_lo, s0
	v_cmp_eq_u32_e32 vcc_lo, 0, v0
	s_waitcnt lgkmcnt(0)
	s_barrier
	buffer_gl0_inv
	s_and_saveexec_b32 s0, vcc_lo
	s_cbranch_execz .LBB20_23
; %bb.22:
	v_mov_b32_e32 v2, 0
	ds_read_b64 v[0:1], v2
	s_waitcnt lgkmcnt(0)
	v_add_f32_e32 v0, v0, v1
	ds_write_b32 v2, v0
.LBB20_23:
	s_or_b32 exec_lo, exec_lo, s0
	s_waitcnt lgkmcnt(0)
	s_barrier
	buffer_gl0_inv
	s_and_saveexec_b32 s0, vcc_lo
	s_cbranch_execz .LBB20_25
; %bb.24:
	v_mov_b32_e32 v0, 0
	s_mov_b32 s7, 0
	s_lshl_b64 s[0:1], s[6:7], 2
	s_add_u32 s0, s2, s0
	ds_read_b32 v1, v0
	s_addc_u32 s1, s3, s1
	s_waitcnt lgkmcnt(0)
	global_store_dword v0, v1, s[0:1]
.LBB20_25:
	s_endpgm
	.section	.rodata,"a",@progbits
	.p2align	6, 0x0
	.amdhsa_kernel _ZN9rocsparseL17doti_kernel_part1ILj256ELj2ElaafEEvT1_PKT2_PKS1_PKT3_PT4_21rocsparse_index_base_
		.amdhsa_group_segment_fixed_size 1024
		.amdhsa_private_segment_fixed_size 0
		.amdhsa_kernarg_size 304
		.amdhsa_user_sgpr_count 6
		.amdhsa_user_sgpr_private_segment_buffer 1
		.amdhsa_user_sgpr_dispatch_ptr 0
		.amdhsa_user_sgpr_queue_ptr 0
		.amdhsa_user_sgpr_kernarg_segment_ptr 1
		.amdhsa_user_sgpr_dispatch_id 0
		.amdhsa_user_sgpr_flat_scratch_init 0
		.amdhsa_user_sgpr_private_segment_size 0
		.amdhsa_wavefront_size32 1
		.amdhsa_uses_dynamic_stack 0
		.amdhsa_system_sgpr_private_segment_wavefront_offset 0
		.amdhsa_system_sgpr_workgroup_id_x 1
		.amdhsa_system_sgpr_workgroup_id_y 0
		.amdhsa_system_sgpr_workgroup_id_z 0
		.amdhsa_system_sgpr_workgroup_info 0
		.amdhsa_system_vgpr_workitem_id 0
		.amdhsa_next_free_vgpr 14
		.amdhsa_next_free_sgpr 21
		.amdhsa_reserve_vcc 1
		.amdhsa_reserve_flat_scratch 0
		.amdhsa_float_round_mode_32 0
		.amdhsa_float_round_mode_16_64 0
		.amdhsa_float_denorm_mode_32 3
		.amdhsa_float_denorm_mode_16_64 3
		.amdhsa_dx10_clamp 1
		.amdhsa_ieee_mode 1
		.amdhsa_fp16_overflow 0
		.amdhsa_workgroup_processor_mode 1
		.amdhsa_memory_ordered 1
		.amdhsa_forward_progress 1
		.amdhsa_shared_vgpr_count 0
		.amdhsa_exception_fp_ieee_invalid_op 0
		.amdhsa_exception_fp_denorm_src 0
		.amdhsa_exception_fp_ieee_div_zero 0
		.amdhsa_exception_fp_ieee_overflow 0
		.amdhsa_exception_fp_ieee_underflow 0
		.amdhsa_exception_fp_ieee_inexact 0
		.amdhsa_exception_int_div_zero 0
	.end_amdhsa_kernel
	.section	.text._ZN9rocsparseL17doti_kernel_part1ILj256ELj2ElaafEEvT1_PKT2_PKS1_PKT3_PT4_21rocsparse_index_base_,"axG",@progbits,_ZN9rocsparseL17doti_kernel_part1ILj256ELj2ElaafEEvT1_PKT2_PKS1_PKT3_PT4_21rocsparse_index_base_,comdat
.Lfunc_end20:
	.size	_ZN9rocsparseL17doti_kernel_part1ILj256ELj2ElaafEEvT1_PKT2_PKS1_PKT3_PT4_21rocsparse_index_base_, .Lfunc_end20-_ZN9rocsparseL17doti_kernel_part1ILj256ELj2ElaafEEvT1_PKT2_PKS1_PKT3_PT4_21rocsparse_index_base_
                                        ; -- End function
	.set _ZN9rocsparseL17doti_kernel_part1ILj256ELj2ElaafEEvT1_PKT2_PKS1_PKT3_PT4_21rocsparse_index_base_.num_vgpr, 14
	.set _ZN9rocsparseL17doti_kernel_part1ILj256ELj2ElaafEEvT1_PKT2_PKS1_PKT3_PT4_21rocsparse_index_base_.num_agpr, 0
	.set _ZN9rocsparseL17doti_kernel_part1ILj256ELj2ElaafEEvT1_PKT2_PKS1_PKT3_PT4_21rocsparse_index_base_.numbered_sgpr, 21
	.set _ZN9rocsparseL17doti_kernel_part1ILj256ELj2ElaafEEvT1_PKT2_PKS1_PKT3_PT4_21rocsparse_index_base_.num_named_barrier, 0
	.set _ZN9rocsparseL17doti_kernel_part1ILj256ELj2ElaafEEvT1_PKT2_PKS1_PKT3_PT4_21rocsparse_index_base_.private_seg_size, 0
	.set _ZN9rocsparseL17doti_kernel_part1ILj256ELj2ElaafEEvT1_PKT2_PKS1_PKT3_PT4_21rocsparse_index_base_.uses_vcc, 1
	.set _ZN9rocsparseL17doti_kernel_part1ILj256ELj2ElaafEEvT1_PKT2_PKS1_PKT3_PT4_21rocsparse_index_base_.uses_flat_scratch, 0
	.set _ZN9rocsparseL17doti_kernel_part1ILj256ELj2ElaafEEvT1_PKT2_PKS1_PKT3_PT4_21rocsparse_index_base_.has_dyn_sized_stack, 0
	.set _ZN9rocsparseL17doti_kernel_part1ILj256ELj2ElaafEEvT1_PKT2_PKS1_PKT3_PT4_21rocsparse_index_base_.has_recursion, 0
	.set _ZN9rocsparseL17doti_kernel_part1ILj256ELj2ElaafEEvT1_PKT2_PKS1_PKT3_PT4_21rocsparse_index_base_.has_indirect_call, 0
	.section	.AMDGPU.csdata,"",@progbits
; Kernel info:
; codeLenInByte = 1204
; TotalNumSgprs: 23
; NumVgprs: 14
; ScratchSize: 0
; MemoryBound: 0
; FloatMode: 240
; IeeeMode: 1
; LDSByteSize: 1024 bytes/workgroup (compile time only)
; SGPRBlocks: 0
; VGPRBlocks: 1
; NumSGPRsForWavesPerEU: 23
; NumVGPRsForWavesPerEU: 14
; Occupancy: 16
; WaveLimiterHint : 1
; COMPUTE_PGM_RSRC2:SCRATCH_EN: 0
; COMPUTE_PGM_RSRC2:USER_SGPR: 6
; COMPUTE_PGM_RSRC2:TRAP_HANDLER: 0
; COMPUTE_PGM_RSRC2:TGID_X_EN: 1
; COMPUTE_PGM_RSRC2:TGID_Y_EN: 0
; COMPUTE_PGM_RSRC2:TGID_Z_EN: 0
; COMPUTE_PGM_RSRC2:TIDIG_COMP_CNT: 0
	.section	.AMDGPU.gpr_maximums,"",@progbits
	.set amdgpu.max_num_vgpr, 0
	.set amdgpu.max_num_agpr, 0
	.set amdgpu.max_num_sgpr, 0
	.section	.AMDGPU.csdata,"",@progbits
	.type	__hip_cuid_7d71d14eb8dc99ea,@object ; @__hip_cuid_7d71d14eb8dc99ea
	.section	.bss,"aw",@nobits
	.globl	__hip_cuid_7d71d14eb8dc99ea
__hip_cuid_7d71d14eb8dc99ea:
	.byte	0                               ; 0x0
	.size	__hip_cuid_7d71d14eb8dc99ea, 1

	.ident	"AMD clang version 22.0.0git (https://github.com/RadeonOpenCompute/llvm-project roc-7.2.4 26084 f58b06dce1f9c15707c5f808fd002e18c2accf7e)"
	.section	".note.GNU-stack","",@progbits
	.addrsig
	.addrsig_sym __hip_cuid_7d71d14eb8dc99ea
	.amdgpu_metadata
---
amdhsa.kernels:
  - .args:
      - .offset:         0
        .size:           4
        .value_kind:     by_value
      - .address_space:  global
        .offset:         8
        .size:           8
        .value_kind:     global_buffer
      - .address_space:  global
        .offset:         16
        .size:           8
        .value_kind:     global_buffer
      - .address_space:  global
        .offset:         24
        .size:           8
        .value_kind:     global_buffer
      - .address_space:  global
        .offset:         32
        .size:           8
        .value_kind:     global_buffer
      - .offset:         40
        .size:           4
        .value_kind:     by_value
      - .offset:         48
        .size:           4
        .value_kind:     hidden_block_count_x
      - .offset:         52
        .size:           4
        .value_kind:     hidden_block_count_y
      - .offset:         56
        .size:           4
        .value_kind:     hidden_block_count_z
      - .offset:         60
        .size:           2
        .value_kind:     hidden_group_size_x
      - .offset:         62
        .size:           2
        .value_kind:     hidden_group_size_y
      - .offset:         64
        .size:           2
        .value_kind:     hidden_group_size_z
      - .offset:         66
        .size:           2
        .value_kind:     hidden_remainder_x
      - .offset:         68
        .size:           2
        .value_kind:     hidden_remainder_y
      - .offset:         70
        .size:           2
        .value_kind:     hidden_remainder_z
      - .offset:         88
        .size:           8
        .value_kind:     hidden_global_offset_x
      - .offset:         96
        .size:           8
        .value_kind:     hidden_global_offset_y
      - .offset:         104
        .size:           8
        .value_kind:     hidden_global_offset_z
      - .offset:         112
        .size:           2
        .value_kind:     hidden_grid_dims
    .group_segment_fixed_size: 1024
    .kernarg_segment_align: 8
    .kernarg_segment_size: 304
    .language:       OpenCL C
    .language_version:
      - 2
      - 0
    .max_flat_workgroup_size: 256
    .name:           _ZN9rocsparseL17doti_kernel_part1ILj256ELj2EifffEEvT1_PKT2_PKS1_PKT3_PT4_21rocsparse_index_base_
    .private_segment_fixed_size: 0
    .sgpr_count:     18
    .sgpr_spill_count: 0
    .symbol:         _ZN9rocsparseL17doti_kernel_part1ILj256ELj2EifffEEvT1_PKT2_PKS1_PKT3_PT4_21rocsparse_index_base_.kd
    .uniform_work_group_size: 1
    .uses_dynamic_stack: false
    .vgpr_count:     13
    .vgpr_spill_count: 0
    .wavefront_size: 32
    .workgroup_processor_mode: 1
  - .args:
      - .address_space:  global
        .offset:         0
        .size:           8
        .value_kind:     global_buffer
      - .address_space:  global
        .offset:         8
        .size:           8
        .value_kind:     global_buffer
    .group_segment_fixed_size: 1024
    .kernarg_segment_align: 8
    .kernarg_segment_size: 16
    .language:       OpenCL C
    .language_version:
      - 2
      - 0
    .max_flat_workgroup_size: 256
    .name:           _ZN9rocsparseL17doti_kernel_part2ILj256EfEEvPT0_S2_
    .private_segment_fixed_size: 0
    .sgpr_count:     8
    .sgpr_spill_count: 0
    .symbol:         _ZN9rocsparseL17doti_kernel_part2ILj256EfEEvPT0_S2_.kd
    .uniform_work_group_size: 1
    .uses_dynamic_stack: false
    .vgpr_count:     4
    .vgpr_spill_count: 0
    .wavefront_size: 32
    .workgroup_processor_mode: 1
  - .args:
      - .offset:         0
        .size:           8
        .value_kind:     by_value
      - .address_space:  global
        .offset:         8
        .size:           8
        .value_kind:     global_buffer
      - .address_space:  global
        .offset:         16
        .size:           8
        .value_kind:     global_buffer
      - .address_space:  global
        .offset:         24
        .size:           8
        .value_kind:     global_buffer
      - .address_space:  global
        .offset:         32
        .size:           8
        .value_kind:     global_buffer
      - .offset:         40
        .size:           4
        .value_kind:     by_value
      - .offset:         48
        .size:           4
        .value_kind:     hidden_block_count_x
      - .offset:         52
        .size:           4
        .value_kind:     hidden_block_count_y
      - .offset:         56
        .size:           4
        .value_kind:     hidden_block_count_z
      - .offset:         60
        .size:           2
        .value_kind:     hidden_group_size_x
      - .offset:         62
        .size:           2
        .value_kind:     hidden_group_size_y
      - .offset:         64
        .size:           2
        .value_kind:     hidden_group_size_z
      - .offset:         66
        .size:           2
        .value_kind:     hidden_remainder_x
      - .offset:         68
        .size:           2
        .value_kind:     hidden_remainder_y
      - .offset:         70
        .size:           2
        .value_kind:     hidden_remainder_z
      - .offset:         88
        .size:           8
        .value_kind:     hidden_global_offset_x
      - .offset:         96
        .size:           8
        .value_kind:     hidden_global_offset_y
      - .offset:         104
        .size:           8
        .value_kind:     hidden_global_offset_z
      - .offset:         112
        .size:           2
        .value_kind:     hidden_grid_dims
    .group_segment_fixed_size: 1024
    .kernarg_segment_align: 8
    .kernarg_segment_size: 304
    .language:       OpenCL C
    .language_version:
      - 2
      - 0
    .max_flat_workgroup_size: 256
    .name:           _ZN9rocsparseL17doti_kernel_part1ILj256ELj2ElfffEEvT1_PKT2_PKS1_PKT3_PT4_21rocsparse_index_base_
    .private_segment_fixed_size: 0
    .sgpr_count:     23
    .sgpr_spill_count: 0
    .symbol:         _ZN9rocsparseL17doti_kernel_part1ILj256ELj2ElfffEEvT1_PKT2_PKS1_PKT3_PT4_21rocsparse_index_base_.kd
    .uniform_work_group_size: 1
    .uses_dynamic_stack: false
    .vgpr_count:     12
    .vgpr_spill_count: 0
    .wavefront_size: 32
    .workgroup_processor_mode: 1
  - .args:
      - .offset:         0
        .size:           4
        .value_kind:     by_value
      - .address_space:  global
        .offset:         8
        .size:           8
        .value_kind:     global_buffer
      - .address_space:  global
        .offset:         16
        .size:           8
        .value_kind:     global_buffer
      - .address_space:  global
        .offset:         24
        .size:           8
        .value_kind:     global_buffer
      - .address_space:  global
        .offset:         32
        .size:           8
        .value_kind:     global_buffer
      - .offset:         40
        .size:           4
        .value_kind:     by_value
      - .offset:         48
        .size:           4
        .value_kind:     hidden_block_count_x
      - .offset:         52
        .size:           4
        .value_kind:     hidden_block_count_y
      - .offset:         56
        .size:           4
        .value_kind:     hidden_block_count_z
      - .offset:         60
        .size:           2
        .value_kind:     hidden_group_size_x
      - .offset:         62
        .size:           2
        .value_kind:     hidden_group_size_y
      - .offset:         64
        .size:           2
        .value_kind:     hidden_group_size_z
      - .offset:         66
        .size:           2
        .value_kind:     hidden_remainder_x
      - .offset:         68
        .size:           2
        .value_kind:     hidden_remainder_y
      - .offset:         70
        .size:           2
        .value_kind:     hidden_remainder_z
      - .offset:         88
        .size:           8
        .value_kind:     hidden_global_offset_x
      - .offset:         96
        .size:           8
        .value_kind:     hidden_global_offset_y
      - .offset:         104
        .size:           8
        .value_kind:     hidden_global_offset_z
      - .offset:         112
        .size:           2
        .value_kind:     hidden_grid_dims
    .group_segment_fixed_size: 2048
    .kernarg_segment_align: 8
    .kernarg_segment_size: 304
    .language:       OpenCL C
    .language_version:
      - 2
      - 0
    .max_flat_workgroup_size: 256
    .name:           _ZN9rocsparseL17doti_kernel_part1ILj256ELj2EidddEEvT1_PKT2_PKS1_PKT3_PT4_21rocsparse_index_base_
    .private_segment_fixed_size: 0
    .sgpr_count:     18
    .sgpr_spill_count: 0
    .symbol:         _ZN9rocsparseL17doti_kernel_part1ILj256ELj2EidddEEvT1_PKT2_PKS1_PKT3_PT4_21rocsparse_index_base_.kd
    .uniform_work_group_size: 1
    .uses_dynamic_stack: false
    .vgpr_count:     14
    .vgpr_spill_count: 0
    .wavefront_size: 32
    .workgroup_processor_mode: 1
  - .args:
      - .address_space:  global
        .offset:         0
        .size:           8
        .value_kind:     global_buffer
      - .address_space:  global
        .offset:         8
        .size:           8
        .value_kind:     global_buffer
    .group_segment_fixed_size: 2048
    .kernarg_segment_align: 8
    .kernarg_segment_size: 16
    .language:       OpenCL C
    .language_version:
      - 2
      - 0
    .max_flat_workgroup_size: 256
    .name:           _ZN9rocsparseL17doti_kernel_part2ILj256EdEEvPT0_S2_
    .private_segment_fixed_size: 0
    .sgpr_count:     8
    .sgpr_spill_count: 0
    .symbol:         _ZN9rocsparseL17doti_kernel_part2ILj256EdEEvPT0_S2_.kd
    .uniform_work_group_size: 1
    .uses_dynamic_stack: false
    .vgpr_count:     6
    .vgpr_spill_count: 0
    .wavefront_size: 32
    .workgroup_processor_mode: 1
  - .args:
      - .offset:         0
        .size:           8
        .value_kind:     by_value
      - .address_space:  global
        .offset:         8
        .size:           8
        .value_kind:     global_buffer
      - .address_space:  global
        .offset:         16
        .size:           8
        .value_kind:     global_buffer
      - .address_space:  global
        .offset:         24
        .size:           8
        .value_kind:     global_buffer
      - .address_space:  global
        .offset:         32
        .size:           8
        .value_kind:     global_buffer
      - .offset:         40
        .size:           4
        .value_kind:     by_value
      - .offset:         48
        .size:           4
        .value_kind:     hidden_block_count_x
      - .offset:         52
        .size:           4
        .value_kind:     hidden_block_count_y
      - .offset:         56
        .size:           4
        .value_kind:     hidden_block_count_z
      - .offset:         60
        .size:           2
        .value_kind:     hidden_group_size_x
      - .offset:         62
        .size:           2
        .value_kind:     hidden_group_size_y
      - .offset:         64
        .size:           2
        .value_kind:     hidden_group_size_z
      - .offset:         66
        .size:           2
        .value_kind:     hidden_remainder_x
      - .offset:         68
        .size:           2
        .value_kind:     hidden_remainder_y
      - .offset:         70
        .size:           2
        .value_kind:     hidden_remainder_z
      - .offset:         88
        .size:           8
        .value_kind:     hidden_global_offset_x
      - .offset:         96
        .size:           8
        .value_kind:     hidden_global_offset_y
      - .offset:         104
        .size:           8
        .value_kind:     hidden_global_offset_z
      - .offset:         112
        .size:           2
        .value_kind:     hidden_grid_dims
    .group_segment_fixed_size: 2048
    .kernarg_segment_align: 8
    .kernarg_segment_size: 304
    .language:       OpenCL C
    .language_version:
      - 2
      - 0
    .max_flat_workgroup_size: 256
    .name:           _ZN9rocsparseL17doti_kernel_part1ILj256ELj2EldddEEvT1_PKT2_PKS1_PKT3_PT4_21rocsparse_index_base_
    .private_segment_fixed_size: 0
    .sgpr_count:     21
    .sgpr_spill_count: 0
    .symbol:         _ZN9rocsparseL17doti_kernel_part1ILj256ELj2EldddEEvT1_PKT2_PKS1_PKT3_PT4_21rocsparse_index_base_.kd
    .uniform_work_group_size: 1
    .uses_dynamic_stack: false
    .vgpr_count:     14
    .vgpr_spill_count: 0
    .wavefront_size: 32
    .workgroup_processor_mode: 1
  - .args:
      - .offset:         0
        .size:           4
        .value_kind:     by_value
      - .address_space:  global
        .offset:         8
        .size:           8
        .value_kind:     global_buffer
      - .address_space:  global
        .offset:         16
        .size:           8
        .value_kind:     global_buffer
      - .address_space:  global
        .offset:         24
        .size:           8
        .value_kind:     global_buffer
      - .address_space:  global
        .offset:         32
        .size:           8
        .value_kind:     global_buffer
      - .offset:         40
        .size:           4
        .value_kind:     by_value
      - .offset:         48
        .size:           4
        .value_kind:     hidden_block_count_x
      - .offset:         52
        .size:           4
        .value_kind:     hidden_block_count_y
      - .offset:         56
        .size:           4
        .value_kind:     hidden_block_count_z
      - .offset:         60
        .size:           2
        .value_kind:     hidden_group_size_x
      - .offset:         62
        .size:           2
        .value_kind:     hidden_group_size_y
      - .offset:         64
        .size:           2
        .value_kind:     hidden_group_size_z
      - .offset:         66
        .size:           2
        .value_kind:     hidden_remainder_x
      - .offset:         68
        .size:           2
        .value_kind:     hidden_remainder_y
      - .offset:         70
        .size:           2
        .value_kind:     hidden_remainder_z
      - .offset:         88
        .size:           8
        .value_kind:     hidden_global_offset_x
      - .offset:         96
        .size:           8
        .value_kind:     hidden_global_offset_y
      - .offset:         104
        .size:           8
        .value_kind:     hidden_global_offset_z
      - .offset:         112
        .size:           2
        .value_kind:     hidden_grid_dims
    .group_segment_fixed_size: 2048
    .kernarg_segment_align: 8
    .kernarg_segment_size: 304
    .language:       OpenCL C
    .language_version:
      - 2
      - 0
    .max_flat_workgroup_size: 256
    .name:           _ZN9rocsparseL17doti_kernel_part1ILj256ELj2Ei21rocsparse_complex_numIfES2_S2_EEvT1_PKT2_PKS3_PKT3_PT4_21rocsparse_index_base_
    .private_segment_fixed_size: 0
    .sgpr_count:     18
    .sgpr_spill_count: 0
    .symbol:         _ZN9rocsparseL17doti_kernel_part1ILj256ELj2Ei21rocsparse_complex_numIfES2_S2_EEvT1_PKT2_PKS3_PKT3_PT4_21rocsparse_index_base_.kd
    .uniform_work_group_size: 1
    .uses_dynamic_stack: false
    .vgpr_count:     14
    .vgpr_spill_count: 0
    .wavefront_size: 32
    .workgroup_processor_mode: 1
  - .args:
      - .address_space:  global
        .offset:         0
        .size:           8
        .value_kind:     global_buffer
      - .address_space:  global
        .offset:         8
        .size:           8
        .value_kind:     global_buffer
    .group_segment_fixed_size: 2048
    .kernarg_segment_align: 8
    .kernarg_segment_size: 16
    .language:       OpenCL C
    .language_version:
      - 2
      - 0
    .max_flat_workgroup_size: 256
    .name:           _ZN9rocsparseL17doti_kernel_part2ILj256E21rocsparse_complex_numIfEEEvPT0_S4_
    .private_segment_fixed_size: 0
    .sgpr_count:     8
    .sgpr_spill_count: 0
    .symbol:         _ZN9rocsparseL17doti_kernel_part2ILj256E21rocsparse_complex_numIfEEEvPT0_S4_.kd
    .uniform_work_group_size: 1
    .uses_dynamic_stack: false
    .vgpr_count:     6
    .vgpr_spill_count: 0
    .wavefront_size: 32
    .workgroup_processor_mode: 1
  - .args:
      - .offset:         0
        .size:           8
        .value_kind:     by_value
      - .address_space:  global
        .offset:         8
        .size:           8
        .value_kind:     global_buffer
      - .address_space:  global
        .offset:         16
        .size:           8
        .value_kind:     global_buffer
      - .address_space:  global
        .offset:         24
        .size:           8
        .value_kind:     global_buffer
      - .address_space:  global
        .offset:         32
        .size:           8
        .value_kind:     global_buffer
      - .offset:         40
        .size:           4
        .value_kind:     by_value
      - .offset:         48
        .size:           4
        .value_kind:     hidden_block_count_x
      - .offset:         52
        .size:           4
        .value_kind:     hidden_block_count_y
      - .offset:         56
        .size:           4
        .value_kind:     hidden_block_count_z
      - .offset:         60
        .size:           2
        .value_kind:     hidden_group_size_x
      - .offset:         62
        .size:           2
        .value_kind:     hidden_group_size_y
      - .offset:         64
        .size:           2
        .value_kind:     hidden_group_size_z
      - .offset:         66
        .size:           2
        .value_kind:     hidden_remainder_x
      - .offset:         68
        .size:           2
        .value_kind:     hidden_remainder_y
      - .offset:         70
        .size:           2
        .value_kind:     hidden_remainder_z
      - .offset:         88
        .size:           8
        .value_kind:     hidden_global_offset_x
      - .offset:         96
        .size:           8
        .value_kind:     hidden_global_offset_y
      - .offset:         104
        .size:           8
        .value_kind:     hidden_global_offset_z
      - .offset:         112
        .size:           2
        .value_kind:     hidden_grid_dims
    .group_segment_fixed_size: 2048
    .kernarg_segment_align: 8
    .kernarg_segment_size: 304
    .language:       OpenCL C
    .language_version:
      - 2
      - 0
    .max_flat_workgroup_size: 256
    .name:           _ZN9rocsparseL17doti_kernel_part1ILj256ELj2El21rocsparse_complex_numIfES2_S2_EEvT1_PKT2_PKS3_PKT3_PT4_21rocsparse_index_base_
    .private_segment_fixed_size: 0
    .sgpr_count:     26
    .sgpr_spill_count: 0
    .symbol:         _ZN9rocsparseL17doti_kernel_part1ILj256ELj2El21rocsparse_complex_numIfES2_S2_EEvT1_PKT2_PKS3_PKT3_PT4_21rocsparse_index_base_.kd
    .uniform_work_group_size: 1
    .uses_dynamic_stack: false
    .vgpr_count:     14
    .vgpr_spill_count: 0
    .wavefront_size: 32
    .workgroup_processor_mode: 1
  - .args:
      - .offset:         0
        .size:           4
        .value_kind:     by_value
      - .address_space:  global
        .offset:         8
        .size:           8
        .value_kind:     global_buffer
      - .address_space:  global
        .offset:         16
        .size:           8
        .value_kind:     global_buffer
      - .address_space:  global
        .offset:         24
        .size:           8
        .value_kind:     global_buffer
      - .address_space:  global
        .offset:         32
        .size:           8
        .value_kind:     global_buffer
      - .offset:         40
        .size:           4
        .value_kind:     by_value
      - .offset:         48
        .size:           4
        .value_kind:     hidden_block_count_x
      - .offset:         52
        .size:           4
        .value_kind:     hidden_block_count_y
      - .offset:         56
        .size:           4
        .value_kind:     hidden_block_count_z
      - .offset:         60
        .size:           2
        .value_kind:     hidden_group_size_x
      - .offset:         62
        .size:           2
        .value_kind:     hidden_group_size_y
      - .offset:         64
        .size:           2
        .value_kind:     hidden_group_size_z
      - .offset:         66
        .size:           2
        .value_kind:     hidden_remainder_x
      - .offset:         68
        .size:           2
        .value_kind:     hidden_remainder_y
      - .offset:         70
        .size:           2
        .value_kind:     hidden_remainder_z
      - .offset:         88
        .size:           8
        .value_kind:     hidden_global_offset_x
      - .offset:         96
        .size:           8
        .value_kind:     hidden_global_offset_y
      - .offset:         104
        .size:           8
        .value_kind:     hidden_global_offset_z
      - .offset:         112
        .size:           2
        .value_kind:     hidden_grid_dims
    .group_segment_fixed_size: 4096
    .kernarg_segment_align: 8
    .kernarg_segment_size: 304
    .language:       OpenCL C
    .language_version:
      - 2
      - 0
    .max_flat_workgroup_size: 256
    .name:           _ZN9rocsparseL17doti_kernel_part1ILj256ELj2Ei21rocsparse_complex_numIdES2_S2_EEvT1_PKT2_PKS3_PKT3_PT4_21rocsparse_index_base_
    .private_segment_fixed_size: 0
    .sgpr_count:     18
    .sgpr_spill_count: 0
    .symbol:         _ZN9rocsparseL17doti_kernel_part1ILj256ELj2Ei21rocsparse_complex_numIdES2_S2_EEvT1_PKT2_PKS3_PKT3_PT4_21rocsparse_index_base_.kd
    .uniform_work_group_size: 1
    .uses_dynamic_stack: false
    .vgpr_count:     24
    .vgpr_spill_count: 0
    .wavefront_size: 32
    .workgroup_processor_mode: 1
  - .args:
      - .address_space:  global
        .offset:         0
        .size:           8
        .value_kind:     global_buffer
      - .address_space:  global
        .offset:         8
        .size:           8
        .value_kind:     global_buffer
    .group_segment_fixed_size: 4096
    .kernarg_segment_align: 8
    .kernarg_segment_size: 16
    .language:       OpenCL C
    .language_version:
      - 2
      - 0
    .max_flat_workgroup_size: 256
    .name:           _ZN9rocsparseL17doti_kernel_part2ILj256E21rocsparse_complex_numIdEEEvPT0_S4_
    .private_segment_fixed_size: 0
    .sgpr_count:     8
    .sgpr_spill_count: 0
    .symbol:         _ZN9rocsparseL17doti_kernel_part2ILj256E21rocsparse_complex_numIdEEEvPT0_S4_.kd
    .uniform_work_group_size: 1
    .uses_dynamic_stack: false
    .vgpr_count:     10
    .vgpr_spill_count: 0
    .wavefront_size: 32
    .workgroup_processor_mode: 1
  - .args:
      - .offset:         0
        .size:           8
        .value_kind:     by_value
      - .address_space:  global
        .offset:         8
        .size:           8
        .value_kind:     global_buffer
      - .address_space:  global
        .offset:         16
        .size:           8
        .value_kind:     global_buffer
      - .address_space:  global
        .offset:         24
        .size:           8
        .value_kind:     global_buffer
      - .address_space:  global
        .offset:         32
        .size:           8
        .value_kind:     global_buffer
      - .offset:         40
        .size:           4
        .value_kind:     by_value
      - .offset:         48
        .size:           4
        .value_kind:     hidden_block_count_x
      - .offset:         52
        .size:           4
        .value_kind:     hidden_block_count_y
      - .offset:         56
        .size:           4
        .value_kind:     hidden_block_count_z
      - .offset:         60
        .size:           2
        .value_kind:     hidden_group_size_x
      - .offset:         62
        .size:           2
        .value_kind:     hidden_group_size_y
      - .offset:         64
        .size:           2
        .value_kind:     hidden_group_size_z
      - .offset:         66
        .size:           2
        .value_kind:     hidden_remainder_x
      - .offset:         68
        .size:           2
        .value_kind:     hidden_remainder_y
      - .offset:         70
        .size:           2
        .value_kind:     hidden_remainder_z
      - .offset:         88
        .size:           8
        .value_kind:     hidden_global_offset_x
      - .offset:         96
        .size:           8
        .value_kind:     hidden_global_offset_y
      - .offset:         104
        .size:           8
        .value_kind:     hidden_global_offset_z
      - .offset:         112
        .size:           2
        .value_kind:     hidden_grid_dims
    .group_segment_fixed_size: 4096
    .kernarg_segment_align: 8
    .kernarg_segment_size: 304
    .language:       OpenCL C
    .language_version:
      - 2
      - 0
    .max_flat_workgroup_size: 256
    .name:           _ZN9rocsparseL17doti_kernel_part1ILj256ELj2El21rocsparse_complex_numIdES2_S2_EEvT1_PKT2_PKS3_PKT3_PT4_21rocsparse_index_base_
    .private_segment_fixed_size: 0
    .sgpr_count:     23
    .sgpr_spill_count: 0
    .symbol:         _ZN9rocsparseL17doti_kernel_part1ILj256ELj2El21rocsparse_complex_numIdES2_S2_EEvT1_PKT2_PKS3_PKT3_PT4_21rocsparse_index_base_.kd
    .uniform_work_group_size: 1
    .uses_dynamic_stack: false
    .vgpr_count:     26
    .vgpr_spill_count: 0
    .wavefront_size: 32
    .workgroup_processor_mode: 1
  - .args:
      - .offset:         0
        .size:           4
        .value_kind:     by_value
      - .address_space:  global
        .offset:         8
        .size:           8
        .value_kind:     global_buffer
      - .address_space:  global
        .offset:         16
        .size:           8
        .value_kind:     global_buffer
      - .address_space:  global
        .offset:         24
        .size:           8
        .value_kind:     global_buffer
      - .address_space:  global
        .offset:         32
        .size:           8
        .value_kind:     global_buffer
      - .offset:         40
        .size:           4
        .value_kind:     by_value
      - .offset:         48
        .size:           4
        .value_kind:     hidden_block_count_x
      - .offset:         52
        .size:           4
        .value_kind:     hidden_block_count_y
      - .offset:         56
        .size:           4
        .value_kind:     hidden_block_count_z
      - .offset:         60
        .size:           2
        .value_kind:     hidden_group_size_x
      - .offset:         62
        .size:           2
        .value_kind:     hidden_group_size_y
      - .offset:         64
        .size:           2
        .value_kind:     hidden_group_size_z
      - .offset:         66
        .size:           2
        .value_kind:     hidden_remainder_x
      - .offset:         68
        .size:           2
        .value_kind:     hidden_remainder_y
      - .offset:         70
        .size:           2
        .value_kind:     hidden_remainder_z
      - .offset:         88
        .size:           8
        .value_kind:     hidden_global_offset_x
      - .offset:         96
        .size:           8
        .value_kind:     hidden_global_offset_y
      - .offset:         104
        .size:           8
        .value_kind:     hidden_global_offset_z
      - .offset:         112
        .size:           2
        .value_kind:     hidden_grid_dims
    .group_segment_fixed_size: 1024
    .kernarg_segment_align: 8
    .kernarg_segment_size: 304
    .language:       OpenCL C
    .language_version:
      - 2
      - 0
    .max_flat_workgroup_size: 256
    .name:           _ZN9rocsparseL17doti_kernel_part1ILj256ELj2EiaaiEEvT1_PKT2_PKS1_PKT3_PT4_21rocsparse_index_base_
    .private_segment_fixed_size: 0
    .sgpr_count:     18
    .sgpr_spill_count: 0
    .symbol:         _ZN9rocsparseL17doti_kernel_part1ILj256ELj2EiaaiEEvT1_PKT2_PKS1_PKT3_PT4_21rocsparse_index_base_.kd
    .uniform_work_group_size: 1
    .uses_dynamic_stack: false
    .vgpr_count:     10
    .vgpr_spill_count: 0
    .wavefront_size: 32
    .workgroup_processor_mode: 1
  - .args:
      - .address_space:  global
        .offset:         0
        .size:           8
        .value_kind:     global_buffer
      - .address_space:  global
        .offset:         8
        .size:           8
        .value_kind:     global_buffer
    .group_segment_fixed_size: 1024
    .kernarg_segment_align: 8
    .kernarg_segment_size: 16
    .language:       OpenCL C
    .language_version:
      - 2
      - 0
    .max_flat_workgroup_size: 256
    .name:           _ZN9rocsparseL17doti_kernel_part2ILj256EiEEvPT0_S2_
    .private_segment_fixed_size: 0
    .sgpr_count:     8
    .sgpr_spill_count: 0
    .symbol:         _ZN9rocsparseL17doti_kernel_part2ILj256EiEEvPT0_S2_.kd
    .uniform_work_group_size: 1
    .uses_dynamic_stack: false
    .vgpr_count:     4
    .vgpr_spill_count: 0
    .wavefront_size: 32
    .workgroup_processor_mode: 1
  - .args:
      - .offset:         0
        .size:           8
        .value_kind:     by_value
      - .address_space:  global
        .offset:         8
        .size:           8
        .value_kind:     global_buffer
      - .address_space:  global
        .offset:         16
        .size:           8
        .value_kind:     global_buffer
      - .address_space:  global
        .offset:         24
        .size:           8
        .value_kind:     global_buffer
      - .address_space:  global
        .offset:         32
        .size:           8
        .value_kind:     global_buffer
      - .offset:         40
        .size:           4
        .value_kind:     by_value
      - .offset:         48
        .size:           4
        .value_kind:     hidden_block_count_x
      - .offset:         52
        .size:           4
        .value_kind:     hidden_block_count_y
      - .offset:         56
        .size:           4
        .value_kind:     hidden_block_count_z
      - .offset:         60
        .size:           2
        .value_kind:     hidden_group_size_x
      - .offset:         62
        .size:           2
        .value_kind:     hidden_group_size_y
      - .offset:         64
        .size:           2
        .value_kind:     hidden_group_size_z
      - .offset:         66
        .size:           2
        .value_kind:     hidden_remainder_x
      - .offset:         68
        .size:           2
        .value_kind:     hidden_remainder_y
      - .offset:         70
        .size:           2
        .value_kind:     hidden_remainder_z
      - .offset:         88
        .size:           8
        .value_kind:     hidden_global_offset_x
      - .offset:         96
        .size:           8
        .value_kind:     hidden_global_offset_y
      - .offset:         104
        .size:           8
        .value_kind:     hidden_global_offset_z
      - .offset:         112
        .size:           2
        .value_kind:     hidden_grid_dims
    .group_segment_fixed_size: 1024
    .kernarg_segment_align: 8
    .kernarg_segment_size: 304
    .language:       OpenCL C
    .language_version:
      - 2
      - 0
    .max_flat_workgroup_size: 256
    .name:           _ZN9rocsparseL17doti_kernel_part1ILj256ELj2ElaaiEEvT1_PKT2_PKS1_PKT3_PT4_21rocsparse_index_base_
    .private_segment_fixed_size: 0
    .sgpr_count:     23
    .sgpr_spill_count: 0
    .symbol:         _ZN9rocsparseL17doti_kernel_part1ILj256ELj2ElaaiEEvT1_PKT2_PKS1_PKT3_PT4_21rocsparse_index_base_.kd
    .uniform_work_group_size: 1
    .uses_dynamic_stack: false
    .vgpr_count:     14
    .vgpr_spill_count: 0
    .wavefront_size: 32
    .workgroup_processor_mode: 1
  - .args:
      - .offset:         0
        .size:           4
        .value_kind:     by_value
      - .address_space:  global
        .offset:         8
        .size:           8
        .value_kind:     global_buffer
      - .address_space:  global
        .offset:         16
        .size:           8
        .value_kind:     global_buffer
      - .address_space:  global
        .offset:         24
        .size:           8
        .value_kind:     global_buffer
      - .address_space:  global
        .offset:         32
        .size:           8
        .value_kind:     global_buffer
      - .offset:         40
        .size:           4
        .value_kind:     by_value
      - .offset:         48
        .size:           4
        .value_kind:     hidden_block_count_x
      - .offset:         52
        .size:           4
        .value_kind:     hidden_block_count_y
      - .offset:         56
        .size:           4
        .value_kind:     hidden_block_count_z
      - .offset:         60
        .size:           2
        .value_kind:     hidden_group_size_x
      - .offset:         62
        .size:           2
        .value_kind:     hidden_group_size_y
      - .offset:         64
        .size:           2
        .value_kind:     hidden_group_size_z
      - .offset:         66
        .size:           2
        .value_kind:     hidden_remainder_x
      - .offset:         68
        .size:           2
        .value_kind:     hidden_remainder_y
      - .offset:         70
        .size:           2
        .value_kind:     hidden_remainder_z
      - .offset:         88
        .size:           8
        .value_kind:     hidden_global_offset_x
      - .offset:         96
        .size:           8
        .value_kind:     hidden_global_offset_y
      - .offset:         104
        .size:           8
        .value_kind:     hidden_global_offset_z
      - .offset:         112
        .size:           2
        .value_kind:     hidden_grid_dims
    .group_segment_fixed_size: 1024
    .kernarg_segment_align: 8
    .kernarg_segment_size: 304
    .language:       OpenCL C
    .language_version:
      - 2
      - 0
    .max_flat_workgroup_size: 256
    .name:           _ZN9rocsparseL17doti_kernel_part1ILj256ELj2EiDF16_DF16_fEEvT1_PKT2_PKS1_PKT3_PT4_21rocsparse_index_base_
    .private_segment_fixed_size: 0
    .sgpr_count:     18
    .sgpr_spill_count: 0
    .symbol:         _ZN9rocsparseL17doti_kernel_part1ILj256ELj2EiDF16_DF16_fEEvT1_PKT2_PKS1_PKT3_PT4_21rocsparse_index_base_.kd
    .uniform_work_group_size: 1
    .uses_dynamic_stack: false
    .vgpr_count:     12
    .vgpr_spill_count: 0
    .wavefront_size: 32
    .workgroup_processor_mode: 1
  - .args:
      - .offset:         0
        .size:           8
        .value_kind:     by_value
      - .address_space:  global
        .offset:         8
        .size:           8
        .value_kind:     global_buffer
      - .address_space:  global
        .offset:         16
        .size:           8
        .value_kind:     global_buffer
      - .address_space:  global
        .offset:         24
        .size:           8
        .value_kind:     global_buffer
      - .address_space:  global
        .offset:         32
        .size:           8
        .value_kind:     global_buffer
      - .offset:         40
        .size:           4
        .value_kind:     by_value
      - .offset:         48
        .size:           4
        .value_kind:     hidden_block_count_x
      - .offset:         52
        .size:           4
        .value_kind:     hidden_block_count_y
      - .offset:         56
        .size:           4
        .value_kind:     hidden_block_count_z
      - .offset:         60
        .size:           2
        .value_kind:     hidden_group_size_x
      - .offset:         62
        .size:           2
        .value_kind:     hidden_group_size_y
      - .offset:         64
        .size:           2
        .value_kind:     hidden_group_size_z
      - .offset:         66
        .size:           2
        .value_kind:     hidden_remainder_x
      - .offset:         68
        .size:           2
        .value_kind:     hidden_remainder_y
      - .offset:         70
        .size:           2
        .value_kind:     hidden_remainder_z
      - .offset:         88
        .size:           8
        .value_kind:     hidden_global_offset_x
      - .offset:         96
        .size:           8
        .value_kind:     hidden_global_offset_y
      - .offset:         104
        .size:           8
        .value_kind:     hidden_global_offset_z
      - .offset:         112
        .size:           2
        .value_kind:     hidden_grid_dims
    .group_segment_fixed_size: 1024
    .kernarg_segment_align: 8
    .kernarg_segment_size: 304
    .language:       OpenCL C
    .language_version:
      - 2
      - 0
    .max_flat_workgroup_size: 256
    .name:           _ZN9rocsparseL17doti_kernel_part1ILj256ELj2ElDF16_DF16_fEEvT1_PKT2_PKS1_PKT3_PT4_21rocsparse_index_base_
    .private_segment_fixed_size: 0
    .sgpr_count:     23
    .sgpr_spill_count: 0
    .symbol:         _ZN9rocsparseL17doti_kernel_part1ILj256ELj2ElDF16_DF16_fEEvT1_PKT2_PKS1_PKT3_PT4_21rocsparse_index_base_.kd
    .uniform_work_group_size: 1
    .uses_dynamic_stack: false
    .vgpr_count:     12
    .vgpr_spill_count: 0
    .wavefront_size: 32
    .workgroup_processor_mode: 1
  - .args:
      - .offset:         0
        .size:           4
        .value_kind:     by_value
      - .address_space:  global
        .offset:         8
        .size:           8
        .value_kind:     global_buffer
      - .address_space:  global
        .offset:         16
        .size:           8
        .value_kind:     global_buffer
      - .address_space:  global
        .offset:         24
        .size:           8
        .value_kind:     global_buffer
      - .address_space:  global
        .offset:         32
        .size:           8
        .value_kind:     global_buffer
      - .offset:         40
        .size:           4
        .value_kind:     by_value
      - .offset:         48
        .size:           4
        .value_kind:     hidden_block_count_x
      - .offset:         52
        .size:           4
        .value_kind:     hidden_block_count_y
      - .offset:         56
        .size:           4
        .value_kind:     hidden_block_count_z
      - .offset:         60
        .size:           2
        .value_kind:     hidden_group_size_x
      - .offset:         62
        .size:           2
        .value_kind:     hidden_group_size_y
      - .offset:         64
        .size:           2
        .value_kind:     hidden_group_size_z
      - .offset:         66
        .size:           2
        .value_kind:     hidden_remainder_x
      - .offset:         68
        .size:           2
        .value_kind:     hidden_remainder_y
      - .offset:         70
        .size:           2
        .value_kind:     hidden_remainder_z
      - .offset:         88
        .size:           8
        .value_kind:     hidden_global_offset_x
      - .offset:         96
        .size:           8
        .value_kind:     hidden_global_offset_y
      - .offset:         104
        .size:           8
        .value_kind:     hidden_global_offset_z
      - .offset:         112
        .size:           2
        .value_kind:     hidden_grid_dims
    .group_segment_fixed_size: 1024
    .kernarg_segment_align: 8
    .kernarg_segment_size: 304
    .language:       OpenCL C
    .language_version:
      - 2
      - 0
    .max_flat_workgroup_size: 256
    .name:           _ZN9rocsparseL17doti_kernel_part1ILj256ELj2Ei18rocsparse_bfloat16S1_fEEvT1_PKT2_PKS2_PKT3_PT4_21rocsparse_index_base_
    .private_segment_fixed_size: 0
    .sgpr_count:     18
    .sgpr_spill_count: 0
    .symbol:         _ZN9rocsparseL17doti_kernel_part1ILj256ELj2Ei18rocsparse_bfloat16S1_fEEvT1_PKT2_PKS2_PKT3_PT4_21rocsparse_index_base_.kd
    .uniform_work_group_size: 1
    .uses_dynamic_stack: false
    .vgpr_count:     12
    .vgpr_spill_count: 0
    .wavefront_size: 32
    .workgroup_processor_mode: 1
  - .args:
      - .offset:         0
        .size:           8
        .value_kind:     by_value
      - .address_space:  global
        .offset:         8
        .size:           8
        .value_kind:     global_buffer
      - .address_space:  global
        .offset:         16
        .size:           8
        .value_kind:     global_buffer
      - .address_space:  global
        .offset:         24
        .size:           8
        .value_kind:     global_buffer
      - .address_space:  global
        .offset:         32
        .size:           8
        .value_kind:     global_buffer
      - .offset:         40
        .size:           4
        .value_kind:     by_value
      - .offset:         48
        .size:           4
        .value_kind:     hidden_block_count_x
      - .offset:         52
        .size:           4
        .value_kind:     hidden_block_count_y
      - .offset:         56
        .size:           4
        .value_kind:     hidden_block_count_z
      - .offset:         60
        .size:           2
        .value_kind:     hidden_group_size_x
      - .offset:         62
        .size:           2
        .value_kind:     hidden_group_size_y
      - .offset:         64
        .size:           2
        .value_kind:     hidden_group_size_z
      - .offset:         66
        .size:           2
        .value_kind:     hidden_remainder_x
      - .offset:         68
        .size:           2
        .value_kind:     hidden_remainder_y
      - .offset:         70
        .size:           2
        .value_kind:     hidden_remainder_z
      - .offset:         88
        .size:           8
        .value_kind:     hidden_global_offset_x
      - .offset:         96
        .size:           8
        .value_kind:     hidden_global_offset_y
      - .offset:         104
        .size:           8
        .value_kind:     hidden_global_offset_z
      - .offset:         112
        .size:           2
        .value_kind:     hidden_grid_dims
    .group_segment_fixed_size: 1024
    .kernarg_segment_align: 8
    .kernarg_segment_size: 304
    .language:       OpenCL C
    .language_version:
      - 2
      - 0
    .max_flat_workgroup_size: 256
    .name:           _ZN9rocsparseL17doti_kernel_part1ILj256ELj2El18rocsparse_bfloat16S1_fEEvT1_PKT2_PKS2_PKT3_PT4_21rocsparse_index_base_
    .private_segment_fixed_size: 0
    .sgpr_count:     23
    .sgpr_spill_count: 0
    .symbol:         _ZN9rocsparseL17doti_kernel_part1ILj256ELj2El18rocsparse_bfloat16S1_fEEvT1_PKT2_PKS2_PKT3_PT4_21rocsparse_index_base_.kd
    .uniform_work_group_size: 1
    .uses_dynamic_stack: false
    .vgpr_count:     12
    .vgpr_spill_count: 0
    .wavefront_size: 32
    .workgroup_processor_mode: 1
  - .args:
      - .offset:         0
        .size:           4
        .value_kind:     by_value
      - .address_space:  global
        .offset:         8
        .size:           8
        .value_kind:     global_buffer
      - .address_space:  global
        .offset:         16
        .size:           8
        .value_kind:     global_buffer
      - .address_space:  global
        .offset:         24
        .size:           8
        .value_kind:     global_buffer
      - .address_space:  global
        .offset:         32
        .size:           8
        .value_kind:     global_buffer
      - .offset:         40
        .size:           4
        .value_kind:     by_value
      - .offset:         48
        .size:           4
        .value_kind:     hidden_block_count_x
      - .offset:         52
        .size:           4
        .value_kind:     hidden_block_count_y
      - .offset:         56
        .size:           4
        .value_kind:     hidden_block_count_z
      - .offset:         60
        .size:           2
        .value_kind:     hidden_group_size_x
      - .offset:         62
        .size:           2
        .value_kind:     hidden_group_size_y
      - .offset:         64
        .size:           2
        .value_kind:     hidden_group_size_z
      - .offset:         66
        .size:           2
        .value_kind:     hidden_remainder_x
      - .offset:         68
        .size:           2
        .value_kind:     hidden_remainder_y
      - .offset:         70
        .size:           2
        .value_kind:     hidden_remainder_z
      - .offset:         88
        .size:           8
        .value_kind:     hidden_global_offset_x
      - .offset:         96
        .size:           8
        .value_kind:     hidden_global_offset_y
      - .offset:         104
        .size:           8
        .value_kind:     hidden_global_offset_z
      - .offset:         112
        .size:           2
        .value_kind:     hidden_grid_dims
    .group_segment_fixed_size: 1024
    .kernarg_segment_align: 8
    .kernarg_segment_size: 304
    .language:       OpenCL C
    .language_version:
      - 2
      - 0
    .max_flat_workgroup_size: 256
    .name:           _ZN9rocsparseL17doti_kernel_part1ILj256ELj2EiaafEEvT1_PKT2_PKS1_PKT3_PT4_21rocsparse_index_base_
    .private_segment_fixed_size: 0
    .sgpr_count:     18
    .sgpr_spill_count: 0
    .symbol:         _ZN9rocsparseL17doti_kernel_part1ILj256ELj2EiaafEEvT1_PKT2_PKS1_PKT3_PT4_21rocsparse_index_base_.kd
    .uniform_work_group_size: 1
    .uses_dynamic_stack: false
    .vgpr_count:     11
    .vgpr_spill_count: 0
    .wavefront_size: 32
    .workgroup_processor_mode: 1
  - .args:
      - .offset:         0
        .size:           8
        .value_kind:     by_value
      - .address_space:  global
        .offset:         8
        .size:           8
        .value_kind:     global_buffer
      - .address_space:  global
        .offset:         16
        .size:           8
        .value_kind:     global_buffer
      - .address_space:  global
        .offset:         24
        .size:           8
        .value_kind:     global_buffer
      - .address_space:  global
        .offset:         32
        .size:           8
        .value_kind:     global_buffer
      - .offset:         40
        .size:           4
        .value_kind:     by_value
      - .offset:         48
        .size:           4
        .value_kind:     hidden_block_count_x
      - .offset:         52
        .size:           4
        .value_kind:     hidden_block_count_y
      - .offset:         56
        .size:           4
        .value_kind:     hidden_block_count_z
      - .offset:         60
        .size:           2
        .value_kind:     hidden_group_size_x
      - .offset:         62
        .size:           2
        .value_kind:     hidden_group_size_y
      - .offset:         64
        .size:           2
        .value_kind:     hidden_group_size_z
      - .offset:         66
        .size:           2
        .value_kind:     hidden_remainder_x
      - .offset:         68
        .size:           2
        .value_kind:     hidden_remainder_y
      - .offset:         70
        .size:           2
        .value_kind:     hidden_remainder_z
      - .offset:         88
        .size:           8
        .value_kind:     hidden_global_offset_x
      - .offset:         96
        .size:           8
        .value_kind:     hidden_global_offset_y
      - .offset:         104
        .size:           8
        .value_kind:     hidden_global_offset_z
      - .offset:         112
        .size:           2
        .value_kind:     hidden_grid_dims
    .group_segment_fixed_size: 1024
    .kernarg_segment_align: 8
    .kernarg_segment_size: 304
    .language:       OpenCL C
    .language_version:
      - 2
      - 0
    .max_flat_workgroup_size: 256
    .name:           _ZN9rocsparseL17doti_kernel_part1ILj256ELj2ElaafEEvT1_PKT2_PKS1_PKT3_PT4_21rocsparse_index_base_
    .private_segment_fixed_size: 0
    .sgpr_count:     23
    .sgpr_spill_count: 0
    .symbol:         _ZN9rocsparseL17doti_kernel_part1ILj256ELj2ElaafEEvT1_PKT2_PKS1_PKT3_PT4_21rocsparse_index_base_.kd
    .uniform_work_group_size: 1
    .uses_dynamic_stack: false
    .vgpr_count:     14
    .vgpr_spill_count: 0
    .wavefront_size: 32
    .workgroup_processor_mode: 1
amdhsa.target:   amdgcn-amd-amdhsa--gfx1030
amdhsa.version:
  - 1
  - 2
...

	.end_amdgpu_metadata
